;; amdgpu-corpus repo=ROCm/rocFFT kind=compiled arch=gfx1201 opt=O3
	.text
	.amdgcn_target "amdgcn-amd-amdhsa--gfx1201"
	.amdhsa_code_object_version 6
	.protected	fft_rtc_back_len1782_factors_11_3_3_3_3_2_wgs_99_tpt_99_halfLds_half_ip_CI_unitstride_sbrr_dirReg ; -- Begin function fft_rtc_back_len1782_factors_11_3_3_3_3_2_wgs_99_tpt_99_halfLds_half_ip_CI_unitstride_sbrr_dirReg
	.globl	fft_rtc_back_len1782_factors_11_3_3_3_3_2_wgs_99_tpt_99_halfLds_half_ip_CI_unitstride_sbrr_dirReg
	.p2align	8
	.type	fft_rtc_back_len1782_factors_11_3_3_3_3_2_wgs_99_tpt_99_halfLds_half_ip_CI_unitstride_sbrr_dirReg,@function
fft_rtc_back_len1782_factors_11_3_3_3_3_2_wgs_99_tpt_99_halfLds_half_ip_CI_unitstride_sbrr_dirReg: ; @fft_rtc_back_len1782_factors_11_3_3_3_3_2_wgs_99_tpt_99_halfLds_half_ip_CI_unitstride_sbrr_dirReg
; %bb.0:
	s_clause 0x2
	s_load_b128 s[4:7], s[0:1], 0x0
	s_load_b64 s[8:9], s[0:1], 0x50
	s_load_b64 s[10:11], s[0:1], 0x18
	v_mul_u32_u24_e32 v1, 0x296, v0
	v_mov_b32_e32 v3, 0
	s_delay_alu instid0(VALU_DEP_2) | instskip(NEXT) | instid1(VALU_DEP_1)
	v_lshrrev_b32_e32 v1, 16, v1
	v_add_nc_u32_e32 v5, ttmp9, v1
	v_mov_b32_e32 v1, 0
	v_mov_b32_e32 v2, 0
	;; [unrolled: 1-line block ×3, first 2 shown]
	s_wait_kmcnt 0x0
	v_cmp_lt_u64_e64 s2, s[6:7], 2
	s_delay_alu instid0(VALU_DEP_1)
	s_and_b32 vcc_lo, exec_lo, s2
	s_cbranch_vccnz .LBB0_8
; %bb.1:
	s_load_b64 s[2:3], s[0:1], 0x10
	v_mov_b32_e32 v1, 0
	v_mov_b32_e32 v2, 0
	s_add_nc_u64 s[12:13], s[10:11], 8
	s_mov_b64 s[14:15], 1
	s_wait_kmcnt 0x0
	s_add_nc_u64 s[16:17], s[2:3], 8
	s_mov_b32 s3, 0
.LBB0_2:                                ; =>This Inner Loop Header: Depth=1
	s_load_b64 s[18:19], s[16:17], 0x0
                                        ; implicit-def: $vgpr7_vgpr8
	s_mov_b32 s2, exec_lo
	s_wait_kmcnt 0x0
	v_or_b32_e32 v4, s19, v6
	s_delay_alu instid0(VALU_DEP_1)
	v_cmpx_ne_u64_e32 0, v[3:4]
	s_wait_alu 0xfffe
	s_xor_b32 s20, exec_lo, s2
	s_cbranch_execz .LBB0_4
; %bb.3:                                ;   in Loop: Header=BB0_2 Depth=1
	s_cvt_f32_u32 s2, s18
	s_cvt_f32_u32 s21, s19
	s_sub_nc_u64 s[24:25], 0, s[18:19]
	s_wait_alu 0xfffe
	s_delay_alu instid0(SALU_CYCLE_1) | instskip(SKIP_1) | instid1(SALU_CYCLE_2)
	s_fmamk_f32 s2, s21, 0x4f800000, s2
	s_wait_alu 0xfffe
	v_s_rcp_f32 s2, s2
	s_delay_alu instid0(TRANS32_DEP_1) | instskip(SKIP_1) | instid1(SALU_CYCLE_2)
	s_mul_f32 s2, s2, 0x5f7ffffc
	s_wait_alu 0xfffe
	s_mul_f32 s21, s2, 0x2f800000
	s_wait_alu 0xfffe
	s_delay_alu instid0(SALU_CYCLE_2) | instskip(SKIP_1) | instid1(SALU_CYCLE_2)
	s_trunc_f32 s21, s21
	s_wait_alu 0xfffe
	s_fmamk_f32 s2, s21, 0xcf800000, s2
	s_cvt_u32_f32 s23, s21
	s_wait_alu 0xfffe
	s_delay_alu instid0(SALU_CYCLE_1) | instskip(SKIP_1) | instid1(SALU_CYCLE_2)
	s_cvt_u32_f32 s22, s2
	s_wait_alu 0xfffe
	s_mul_u64 s[26:27], s[24:25], s[22:23]
	s_wait_alu 0xfffe
	s_mul_hi_u32 s29, s22, s27
	s_mul_i32 s28, s22, s27
	s_mul_hi_u32 s2, s22, s26
	s_mul_i32 s30, s23, s26
	s_wait_alu 0xfffe
	s_add_nc_u64 s[28:29], s[2:3], s[28:29]
	s_mul_hi_u32 s21, s23, s26
	s_mul_hi_u32 s31, s23, s27
	s_add_co_u32 s2, s28, s30
	s_wait_alu 0xfffe
	s_add_co_ci_u32 s2, s29, s21
	s_mul_i32 s26, s23, s27
	s_add_co_ci_u32 s27, s31, 0
	s_wait_alu 0xfffe
	s_add_nc_u64 s[26:27], s[2:3], s[26:27]
	s_wait_alu 0xfffe
	v_add_co_u32 v4, s2, s22, s26
	s_delay_alu instid0(VALU_DEP_1) | instskip(SKIP_1) | instid1(VALU_DEP_1)
	s_cmp_lg_u32 s2, 0
	s_add_co_ci_u32 s23, s23, s27
	v_readfirstlane_b32 s22, v4
	s_wait_alu 0xfffe
	s_delay_alu instid0(VALU_DEP_1)
	s_mul_u64 s[24:25], s[24:25], s[22:23]
	s_wait_alu 0xfffe
	s_mul_hi_u32 s27, s22, s25
	s_mul_i32 s26, s22, s25
	s_mul_hi_u32 s2, s22, s24
	s_mul_i32 s28, s23, s24
	s_wait_alu 0xfffe
	s_add_nc_u64 s[26:27], s[2:3], s[26:27]
	s_mul_hi_u32 s21, s23, s24
	s_mul_hi_u32 s22, s23, s25
	s_wait_alu 0xfffe
	s_add_co_u32 s2, s26, s28
	s_add_co_ci_u32 s2, s27, s21
	s_mul_i32 s24, s23, s25
	s_add_co_ci_u32 s25, s22, 0
	s_wait_alu 0xfffe
	s_add_nc_u64 s[24:25], s[2:3], s[24:25]
	s_wait_alu 0xfffe
	v_add_co_u32 v4, s2, v4, s24
	s_delay_alu instid0(VALU_DEP_1) | instskip(SKIP_1) | instid1(VALU_DEP_1)
	s_cmp_lg_u32 s2, 0
	s_add_co_ci_u32 s2, s23, s25
	v_mul_hi_u32 v13, v5, v4
	s_wait_alu 0xfffe
	v_mad_co_u64_u32 v[7:8], null, v5, s2, 0
	v_mad_co_u64_u32 v[9:10], null, v6, v4, 0
	;; [unrolled: 1-line block ×3, first 2 shown]
	s_delay_alu instid0(VALU_DEP_3) | instskip(SKIP_1) | instid1(VALU_DEP_4)
	v_add_co_u32 v4, vcc_lo, v13, v7
	s_wait_alu 0xfffd
	v_add_co_ci_u32_e32 v7, vcc_lo, 0, v8, vcc_lo
	s_delay_alu instid0(VALU_DEP_2) | instskip(SKIP_1) | instid1(VALU_DEP_2)
	v_add_co_u32 v4, vcc_lo, v4, v9
	s_wait_alu 0xfffd
	v_add_co_ci_u32_e32 v4, vcc_lo, v7, v10, vcc_lo
	s_wait_alu 0xfffd
	v_add_co_ci_u32_e32 v7, vcc_lo, 0, v12, vcc_lo
	s_delay_alu instid0(VALU_DEP_2) | instskip(SKIP_1) | instid1(VALU_DEP_2)
	v_add_co_u32 v4, vcc_lo, v4, v11
	s_wait_alu 0xfffd
	v_add_co_ci_u32_e32 v9, vcc_lo, 0, v7, vcc_lo
	s_delay_alu instid0(VALU_DEP_2) | instskip(SKIP_1) | instid1(VALU_DEP_3)
	v_mul_lo_u32 v10, s19, v4
	v_mad_co_u64_u32 v[7:8], null, s18, v4, 0
	v_mul_lo_u32 v11, s18, v9
	s_delay_alu instid0(VALU_DEP_2) | instskip(NEXT) | instid1(VALU_DEP_2)
	v_sub_co_u32 v7, vcc_lo, v5, v7
	v_add3_u32 v8, v8, v11, v10
	s_delay_alu instid0(VALU_DEP_1) | instskip(SKIP_1) | instid1(VALU_DEP_1)
	v_sub_nc_u32_e32 v10, v6, v8
	s_wait_alu 0xfffd
	v_subrev_co_ci_u32_e64 v10, s2, s19, v10, vcc_lo
	v_add_co_u32 v11, s2, v4, 2
	s_wait_alu 0xf1ff
	v_add_co_ci_u32_e64 v12, s2, 0, v9, s2
	v_sub_co_u32 v13, s2, v7, s18
	v_sub_co_ci_u32_e32 v8, vcc_lo, v6, v8, vcc_lo
	s_wait_alu 0xf1ff
	v_subrev_co_ci_u32_e64 v10, s2, 0, v10, s2
	s_delay_alu instid0(VALU_DEP_3) | instskip(NEXT) | instid1(VALU_DEP_3)
	v_cmp_le_u32_e32 vcc_lo, s18, v13
	v_cmp_eq_u32_e64 s2, s19, v8
	s_wait_alu 0xfffd
	v_cndmask_b32_e64 v13, 0, -1, vcc_lo
	v_cmp_le_u32_e32 vcc_lo, s19, v10
	s_wait_alu 0xfffd
	v_cndmask_b32_e64 v14, 0, -1, vcc_lo
	v_cmp_le_u32_e32 vcc_lo, s18, v7
	;; [unrolled: 3-line block ×3, first 2 shown]
	s_wait_alu 0xfffd
	v_cndmask_b32_e64 v15, 0, -1, vcc_lo
	v_cmp_eq_u32_e32 vcc_lo, s19, v10
	s_wait_alu 0xf1ff
	s_delay_alu instid0(VALU_DEP_2)
	v_cndmask_b32_e64 v7, v15, v7, s2
	s_wait_alu 0xfffd
	v_cndmask_b32_e32 v10, v14, v13, vcc_lo
	v_add_co_u32 v13, vcc_lo, v4, 1
	s_wait_alu 0xfffd
	v_add_co_ci_u32_e32 v14, vcc_lo, 0, v9, vcc_lo
	s_delay_alu instid0(VALU_DEP_3) | instskip(SKIP_2) | instid1(VALU_DEP_3)
	v_cmp_ne_u32_e32 vcc_lo, 0, v10
	s_wait_alu 0xfffd
	v_cndmask_b32_e32 v10, v13, v11, vcc_lo
	v_cndmask_b32_e32 v8, v14, v12, vcc_lo
	v_cmp_ne_u32_e32 vcc_lo, 0, v7
	s_wait_alu 0xfffd
	s_delay_alu instid0(VALU_DEP_2)
	v_dual_cndmask_b32 v7, v4, v10 :: v_dual_cndmask_b32 v8, v9, v8
.LBB0_4:                                ;   in Loop: Header=BB0_2 Depth=1
	s_wait_alu 0xfffe
	s_and_not1_saveexec_b32 s2, s20
	s_cbranch_execz .LBB0_6
; %bb.5:                                ;   in Loop: Header=BB0_2 Depth=1
	v_cvt_f32_u32_e32 v4, s18
	s_sub_co_i32 s20, 0, s18
	s_delay_alu instid0(VALU_DEP_1) | instskip(NEXT) | instid1(TRANS32_DEP_1)
	v_rcp_iflag_f32_e32 v4, v4
	v_mul_f32_e32 v4, 0x4f7ffffe, v4
	s_delay_alu instid0(VALU_DEP_1) | instskip(SKIP_1) | instid1(VALU_DEP_1)
	v_cvt_u32_f32_e32 v4, v4
	s_wait_alu 0xfffe
	v_mul_lo_u32 v7, s20, v4
	s_delay_alu instid0(VALU_DEP_1) | instskip(NEXT) | instid1(VALU_DEP_1)
	v_mul_hi_u32 v7, v4, v7
	v_add_nc_u32_e32 v4, v4, v7
	s_delay_alu instid0(VALU_DEP_1) | instskip(NEXT) | instid1(VALU_DEP_1)
	v_mul_hi_u32 v4, v5, v4
	v_mul_lo_u32 v7, v4, s18
	v_add_nc_u32_e32 v8, 1, v4
	s_delay_alu instid0(VALU_DEP_2) | instskip(NEXT) | instid1(VALU_DEP_1)
	v_sub_nc_u32_e32 v7, v5, v7
	v_subrev_nc_u32_e32 v9, s18, v7
	v_cmp_le_u32_e32 vcc_lo, s18, v7
	s_wait_alu 0xfffd
	s_delay_alu instid0(VALU_DEP_2) | instskip(NEXT) | instid1(VALU_DEP_1)
	v_dual_cndmask_b32 v7, v7, v9 :: v_dual_cndmask_b32 v4, v4, v8
	v_cmp_le_u32_e32 vcc_lo, s18, v7
	s_delay_alu instid0(VALU_DEP_2) | instskip(SKIP_1) | instid1(VALU_DEP_1)
	v_add_nc_u32_e32 v8, 1, v4
	s_wait_alu 0xfffd
	v_dual_cndmask_b32 v7, v4, v8 :: v_dual_mov_b32 v8, v3
.LBB0_6:                                ;   in Loop: Header=BB0_2 Depth=1
	s_wait_alu 0xfffe
	s_or_b32 exec_lo, exec_lo, s2
	s_load_b64 s[20:21], s[12:13], 0x0
	s_delay_alu instid0(VALU_DEP_1)
	v_mul_lo_u32 v4, v8, s18
	v_mul_lo_u32 v11, v7, s19
	v_mad_co_u64_u32 v[9:10], null, v7, s18, 0
	s_add_nc_u64 s[14:15], s[14:15], 1
	s_add_nc_u64 s[12:13], s[12:13], 8
	s_wait_alu 0xfffe
	v_cmp_ge_u64_e64 s2, s[14:15], s[6:7]
	s_add_nc_u64 s[16:17], s[16:17], 8
	s_delay_alu instid0(VALU_DEP_2) | instskip(NEXT) | instid1(VALU_DEP_3)
	v_add3_u32 v4, v10, v11, v4
	v_sub_co_u32 v5, vcc_lo, v5, v9
	s_wait_alu 0xfffd
	s_delay_alu instid0(VALU_DEP_2) | instskip(SKIP_3) | instid1(VALU_DEP_2)
	v_sub_co_ci_u32_e32 v4, vcc_lo, v6, v4, vcc_lo
	s_and_b32 vcc_lo, exec_lo, s2
	s_wait_kmcnt 0x0
	v_mul_lo_u32 v6, s21, v5
	v_mul_lo_u32 v4, s20, v4
	v_mad_co_u64_u32 v[1:2], null, s20, v5, v[1:2]
	s_delay_alu instid0(VALU_DEP_1)
	v_add3_u32 v2, v6, v2, v4
	s_wait_alu 0xfffe
	s_cbranch_vccnz .LBB0_9
; %bb.7:                                ;   in Loop: Header=BB0_2 Depth=1
	v_dual_mov_b32 v5, v7 :: v_dual_mov_b32 v6, v8
	s_branch .LBB0_2
.LBB0_8:
	v_dual_mov_b32 v8, v6 :: v_dual_mov_b32 v7, v5
.LBB0_9:
	s_lshl_b64 s[2:3], s[6:7], 3
	v_mul_hi_u32 v5, 0x295fad5, v0
	s_wait_alu 0xfffe
	s_add_nc_u64 s[2:3], s[10:11], s[2:3]
                                        ; implicit-def: $vgpr47
                                        ; implicit-def: $vgpr45
                                        ; implicit-def: $vgpr24
                                        ; implicit-def: $vgpr44
                                        ; implicit-def: $vgpr14
                                        ; implicit-def: $vgpr43
                                        ; implicit-def: $vgpr13
                                        ; implicit-def: $vgpr42
                                        ; implicit-def: $vgpr12
                                        ; implicit-def: $vgpr41
                                        ; implicit-def: $vgpr40
                                        ; implicit-def: $vgpr10
                                        ; implicit-def: $vgpr35
                                        ; implicit-def: $vgpr23
                                        ; implicit-def: $vgpr34
                                        ; implicit-def: $vgpr26
                                        ; implicit-def: $vgpr30
                                        ; implicit-def: $vgpr27
                                        ; implicit-def: $vgpr29
                                        ; implicit-def: $vgpr39
                                        ; implicit-def: $vgpr25
                                        ; implicit-def: $vgpr37
                                        ; implicit-def: $vgpr22
                                        ; implicit-def: $vgpr33
                                        ; implicit-def: $vgpr21
                                        ; implicit-def: $vgpr32
                                        ; implicit-def: $vgpr20
                                        ; implicit-def: $vgpr11
                                        ; implicit-def: $vgpr15
                                        ; implicit-def: $vgpr16
                                        ; implicit-def: $vgpr38
                                        ; implicit-def: $vgpr17
                                        ; implicit-def: $vgpr36
                                        ; implicit-def: $vgpr18
                                        ; implicit-def: $vgpr31
                                        ; implicit-def: $vgpr19
                                        ; implicit-def: $vgpr28
	s_load_b64 s[2:3], s[2:3], 0x0
	s_load_b64 s[0:1], s[0:1], 0x20
	s_wait_kmcnt 0x0
	v_mul_lo_u32 v6, s2, v8
	v_mul_lo_u32 v9, s3, v7
	v_mad_co_u64_u32 v[3:4], null, s2, v7, v[1:2]
	v_mul_u32_u24_e32 v1, 0x63, v5
	v_cmp_gt_u64_e32 vcc_lo, s[0:1], v[7:8]
                                        ; implicit-def: $vgpr7
                                        ; implicit-def: $vgpr5
                                        ; implicit-def: $vgpr8
	s_delay_alu instid0(VALU_DEP_2) | instskip(NEXT) | instid1(VALU_DEP_4)
	v_sub_nc_u32_e32 v2, v0, v1
	v_add3_u32 v4, v9, v4, v6
	v_mov_b32_e32 v6, 0
                                        ; implicit-def: $vgpr9
	s_delay_alu instid0(VALU_DEP_2)
	v_lshlrev_b64_e32 v[0:1], 2, v[3:4]
	v_mov_b32_e32 v3, 0
                                        ; implicit-def: $vgpr4
	s_and_saveexec_b32 s1, vcc_lo
	s_cbranch_execz .LBB0_13
; %bb.10:
	v_mov_b32_e32 v3, 0
	s_delay_alu instid0(VALU_DEP_3) | instskip(SKIP_2) | instid1(VALU_DEP_3)
	v_add_co_u32 v6, s0, s8, v0
	s_wait_alu 0xf1ff
	v_add_co_ci_u32_e64 v7, s0, s9, v1, s0
	v_lshlrev_b64_e32 v[4:5], 2, v[2:3]
                                        ; implicit-def: $vgpr28
                                        ; implicit-def: $vgpr19
                                        ; implicit-def: $vgpr31
                                        ; implicit-def: $vgpr18
                                        ; implicit-def: $vgpr36
                                        ; implicit-def: $vgpr17
                                        ; implicit-def: $vgpr38
                                        ; implicit-def: $vgpr16
                                        ; implicit-def: $vgpr9
                                        ; implicit-def: $vgpr15
                                        ; implicit-def: $vgpr8
                                        ; implicit-def: $vgpr11
                                        ; implicit-def: $vgpr20
                                        ; implicit-def: $vgpr32
                                        ; implicit-def: $vgpr21
                                        ; implicit-def: $vgpr33
                                        ; implicit-def: $vgpr22
                                        ; implicit-def: $vgpr37
                                        ; implicit-def: $vgpr25
                                        ; implicit-def: $vgpr39
	s_delay_alu instid0(VALU_DEP_1) | instskip(SKIP_1) | instid1(VALU_DEP_2)
	v_add_co_u32 v4, s0, v6, v4
	s_wait_alu 0xf1ff
	v_add_co_ci_u32_e64 v5, s0, v7, v5, s0
	v_cmp_gt_u32_e64 s0, 63, v2
	v_mov_b32_e32 v6, v3
	s_clause 0xa
	global_load_b32 v47, v[4:5], off
	global_load_b32 v24, v[4:5], off offset:648
	global_load_b32 v14, v[4:5], off offset:1296
	global_load_b32 v13, v[4:5], off offset:1944
	global_load_b32 v12, v[4:5], off offset:2592
	global_load_b32 v7, v[4:5], off offset:3240
	global_load_b32 v10, v[4:5], off offset:3888
	global_load_b32 v23, v[4:5], off offset:4536
	global_load_b32 v26, v[4:5], off offset:5184
	global_load_b32 v27, v[4:5], off offset:5832
	global_load_b32 v29, v[4:5], off offset:6480
	s_and_saveexec_b32 s2, s0
	s_cbranch_execz .LBB0_12
; %bb.11:
	s_clause 0xa
	global_load_b32 v3, v[4:5], off offset:396
	global_load_b32 v25, v[4:5], off offset:1044
	;; [unrolled: 1-line block ×11, first 2 shown]
	s_wait_loadcnt 0xa
	v_lshrrev_b32_e32 v6, 16, v3
	s_wait_loadcnt 0x9
	v_lshrrev_b32_e32 v39, 16, v25
	;; [unrolled: 2-line block ×11, first 2 shown]
.LBB0_12:
	s_wait_alu 0xfffe
	s_or_b32 exec_lo, exec_lo, s2
	s_wait_loadcnt 0xa
	v_lshrrev_b32_e32 v4, 16, v47
	s_wait_loadcnt 0x9
	v_lshrrev_b32_e32 v45, 16, v24
	;; [unrolled: 2-line block ×11, first 2 shown]
.LBB0_13:
	s_wait_alu 0xfffe
	s_or_b32 exec_lo, exec_lo, s1
	v_add_f16_e32 v46, v47, v24
	v_add_f16_e32 v48, v24, v29
	v_sub_f16_e32 v49, v45, v5
	v_add_f16_e32 v50, v14, v27
	v_sub_f16_e32 v51, v44, v30
	v_add_f16_e32 v46, v46, v14
	v_mul_f16_e32 v58, 0xbbad, v48
	v_add_f16_e32 v52, v13, v26
	v_mul_f16_e32 v60, 0x3abb, v50
	v_sub_f16_e32 v53, v43, v34
	v_add_f16_e32 v46, v46, v13
	v_fmamk_f16 v66, v49, 0xb482, v58
	v_add_f16_e32 v54, v12, v23
	v_mul_f16_e32 v62, 0xb93d, v52
	v_fmamk_f16 v69, v51, 0x3853, v60
	v_add_f16_e32 v46, v46, v12
	v_add_f16_e32 v66, v66, v47
	v_sub_f16_e32 v55, v42, v35
	v_add_f16_e32 v56, v7, v10
	v_mul_f16_e32 v64, 0x36a6, v54
	v_add_f16_e32 v46, v46, v7
	v_pk_mul_f16 v68, 0x36a63abb, v48 op_sel_hi:[1,0]
	v_fmamk_f16 v71, v53, 0xba0c, v62
	v_add_f16_e32 v66, v69, v66
	v_sub_f16_e32 v57, v41, v40
	v_add_f16_e32 v46, v46, v10
	v_mul_f16_e32 v67, 0xb08e, v56
	v_pk_mul_f16 v70, 0xb93d36a6, v50 op_sel_hi:[1,0]
	v_fmamk_f16 v72, v55, 0x3b47, v64
	v_fmamk_f16 v73, v49, 0x3853, v68
	v_add_f16_e32 v46, v46, v23
	v_pk_fma_f16 v68, 0xbb47b853, v49, v68 op_sel_hi:[1,0,1]
	v_add_f16_e32 v66, v71, v66
	v_fmamk_f16 v69, v57, 0xbbeb, v67
	v_fmamk_f16 v71, v51, 0x3b47, v70
	v_add_f16_e32 v46, v46, v26
	v_pk_fma_f16 v70, 0xba0cbb47, v51, v70 op_sel_hi:[1,0,1]
	v_add_f16_e32 v73, v73, v47
	v_add_f16_e32 v66, v72, v66
	v_pk_add_f16 v68, v68, v47 op_sel_hi:[1,0]
	v_add_f16_e32 v46, v46, v27
	v_pk_mul_f16 v75, 0xb93db08e, v48 op_sel_hi:[1,0]
	v_mul_f16_e32 v59, 0xb482, v49
	v_add_f16_e32 v66, v69, v66
	v_add_f16_e32 v69, v71, v73
	v_add_f16_e32 v72, v46, v29
	v_pk_mul_f16 v46, 0xbbadb08e, v52 op_sel_hi:[1,0]
	v_pk_add_f16 v68, v70, v68
	v_pk_mul_f16 v71, 0xb08eb93d, v54 op_sel_hi:[1,0]
	v_pk_mul_f16 v76, 0xb08ebbad, v50 op_sel_hi:[1,0]
	;; [unrolled: 1-line block ×3, first 2 shown]
	v_fmamk_f16 v70, v53, 0x3beb, v46
	v_pk_fma_f16 v73, 0x3482bbeb, v53, v46 op_sel_hi:[1,0,1]
	v_mul_f16_e32 v61, 0x3853, v51
	v_pk_mul_f16 v77, 0x3abb36a6, v52 op_sel_hi:[1,0]
	v_bfi_b32 v58, 0xffff, v58, v75
	v_add_f16_e32 v69, v70, v69
	v_fmamk_f16 v70, v55, 0x3a0c, v71
	v_pk_add_f16 v68, v73, v68
	v_pk_fma_f16 v71, 0x3bebba0c, v55, v71 op_sel_hi:[1,0,1]
	v_pk_fma_f16 v73, 0xba0cbbeb, v49, v75 op_sel_hi:[1,0,1]
	v_bfi_b32 v59, 0xffff, v59, v79
	v_pk_mul_f16 v75, 0x3beb3482, v51 op_sel_hi:[1,0]
	v_pk_mul_f16 v49, 0x3b473beb, v49 op_sel_hi:[1,0]
	v_pk_add_f16 v68, v71, v68
	v_pk_add_f16 v71, v73, v47 op_sel_hi:[1,0]
	v_pk_fma_f16 v73, 0x3beb3482, v51, v76 op_sel_hi:[1,0,1]
	v_mul_f16_e32 v63, 0xba0c, v53
	v_pk_mul_f16 v80, 0xbbad3abb, v54 op_sel_hi:[1,0]
	v_pk_mul_f16 v79, 0xb8533b47, v53 op_sel_hi:[1,0]
	v_pk_add_f16 v58, v58, v59 neg_lo:[0,1] neg_hi:[0,1]
	v_pk_add_f16 v71, v73, v71
	v_pk_fma_f16 v73, 0xb8533b47, v53, v77 op_sel_hi:[1,0,1]
	v_bfi_b32 v59, 0xffff, v60, v76
	v_bfi_b32 v60, 0xffff, v61, v75
	v_pk_fma_f16 v48, 0x36a6b08e, v48, v49 op_sel_hi:[1,0,1]
	v_pk_mul_f16 v49, 0x3a0cb482, v51 op_sel_hi:[1,0]
	v_mul_f16_e32 v65, 0x3b47, v55
	v_pk_add_f16 v71, v73, v71
	v_pk_fma_f16 v73, 0xb482b853, v55, v80 op_sel_hi:[1,0,1]
	v_pk_mul_f16 v61, 0xb482b853, v55 op_sel_hi:[1,0]
	v_pk_add_f16 v58, v58, v47 op_sel_hi:[1,0]
	v_pk_add_f16 v59, v59, v60 neg_lo:[0,1] neg_hi:[0,1]
	v_bfi_b32 v60, 0xffff, v62, v77
	v_bfi_b32 v62, 0xffff, v63, v79
	v_pk_add_f16 v47, v48, v47 op_sel_hi:[1,0]
	v_pk_fma_f16 v48, 0xb93dbbad, v50, v49 op_sel_hi:[1,0,1]
	v_pk_mul_f16 v49, 0xb482bb47, v53 op_sel_hi:[1,0]
	v_mul_f16_e32 v74, 0xbbeb, v57
	v_add_f16_e32 v69, v70, v69
	v_pk_mul_f16 v70, 0x3abbbbad, v56 op_sel_hi:[1,0]
	v_pk_add_f16 v71, v73, v71
	v_pk_mul_f16 v73, 0x36a6b93d, v56 op_sel_hi:[1,0]
	v_pk_mul_f16 v63, 0x3b47ba0c, v57 op_sel_hi:[1,0]
	v_pk_add_f16 v58, v59, v58
	v_pk_add_f16 v51, v60, v62 neg_lo:[0,1] neg_hi:[0,1]
	v_bfi_b32 v59, 0xffff, v64, v80
	v_bfi_b32 v60, 0xffff, v65, v61
	v_pk_add_f16 v47, v48, v47
	v_pk_fma_f16 v48, 0xbbad36a6, v52, v49 op_sel_hi:[1,0,1]
	v_pk_mul_f16 v49, 0xbbeb3853, v55 op_sel_hi:[1,0]
	v_fmamk_f16 v78, v57, 0x3482, v70
	v_pk_fma_f16 v70, 0x3853b482, v57, v70 op_sel_hi:[1,0,1]
	v_pk_fma_f16 v50, 0x3b47ba0c, v57, v73 op_sel_hi:[1,0,1]
	v_pk_add_f16 v51, v51, v58
	v_pk_add_f16 v53, v59, v60 neg_lo:[0,1] neg_hi:[0,1]
	v_bfi_b32 v52, 0xffff, v67, v73
	v_bfi_b32 v55, 0xffff, v74, v63
	v_pk_add_f16 v47, v48, v47
	v_pk_fma_f16 v48, 0xb08e3abb, v54, v49 op_sel_hi:[1,0,1]
	v_pk_mul_f16 v49, 0xb8533a0c, v57 op_sel_hi:[1,0]
	v_pk_add_f16 v51, v53, v51
	v_pk_add_f16 v52, v52, v55 neg_lo:[0,1] neg_hi:[0,1]
	v_pk_add_f16 v53, v50, v71
	v_pk_add_f16 v54, v70, v68
	;; [unrolled: 1-line block ×3, first 2 shown]
	v_pk_fma_f16 v56, 0x3abbb93d, v56, v49 op_sel_hi:[1,0,1]
	v_mad_u32_u24 v46, v2, 22, 0
	v_pk_add_f16 v50, v52, v51
	v_alignbit_b32 v49, v66, v53, 16
	v_alignbit_b32 v48, v53, v54, 16
	v_pack_b32_f16 v47, v72, v54
	v_cmp_gt_u32_e64 s0, 63, v2
	v_pk_add_f16 v51, v56, v55
	v_add_f16_e32 v52, v78, v69
	ds_store_b128 v46, v[47:50]
	ds_store_b32 v46, v51 offset:16
	ds_store_b16 v46, v52 offset:20
	s_and_saveexec_b32 s1, s0
	s_cbranch_execz .LBB0_15
; %bb.14:
	v_add_f16_e32 v48, v25, v38
	v_sub_f16_e32 v49, v39, v16
	v_add_f16_e32 v50, v22, v36
	v_sub_f16_e32 v51, v37, v17
	v_add_f16_e32 v52, v21, v31
	v_mul_f16_e32 v58, 0xbbad, v48
	v_sub_f16_e32 v53, v33, v18
	v_mul_f16_e32 v60, 0x3abb, v50
	v_add_f16_e32 v54, v20, v28
	v_mul_f16_e32 v62, 0xb93d, v52
	v_fmamk_f16 v68, v49, 0xb482, v58
	v_pk_mul_f16 v69, 0x36a63abb, v48 op_sel_hi:[1,0]
	v_fmamk_f16 v71, v51, 0x3853, v60
	v_sub_f16_e32 v55, v32, v19
	v_mul_f16_e32 v64, 0x36a6, v54
	v_add_f16_e32 v68, v3, v68
	v_pk_mul_f16 v70, 0xb93d36a6, v50 op_sel_hi:[1,0]
	v_fmamk_f16 v73, v53, 0xba0c, v62
	v_add_f16_e32 v47, v3, v25
	v_pk_mul_f16 v72, 0xbbadb08e, v52 op_sel_hi:[1,0]
	v_add_f16_e32 v68, v68, v71
	v_fmamk_f16 v71, v49, 0x3853, v69
	v_fmamk_f16 v74, v55, 0x3b47, v64
	;; [unrolled: 1-line block ×3, first 2 shown]
	v_pk_fma_f16 v69, 0xbb47b853, v49, v69 op_sel_hi:[1,0,1]
	v_add_f16_e32 v68, v68, v73
	v_add_f16_e32 v71, v3, v71
	;; [unrolled: 1-line block ×4, first 2 shown]
	v_pk_fma_f16 v70, 0xba0cbb47, v51, v70 op_sel_hi:[1,0,1]
	v_pk_add_f16 v69, v3, v69 op_sel_hi:[0,1]
	v_add_f16_e32 v68, v68, v74
	v_add_f16_e32 v71, v71, v75
	v_fmamk_f16 v73, v53, 0x3beb, v72
	v_pk_mul_f16 v74, 0xb08eb93d, v54 op_sel_hi:[1,0]
	v_add_f16_e32 v47, v47, v21
	v_sub_f16_e32 v57, v11, v15
	v_mul_f16_e32 v66, 0xb08e, v56
	v_pk_add_f16 v69, v69, v70
	v_pk_fma_f16 v70, 0x3482bbeb, v53, v72 op_sel_hi:[1,0,1]
	v_add_f16_e32 v71, v71, v73
	v_fmamk_f16 v73, v55, 0x3a0c, v74
	v_mul_f16_e32 v59, 0xb482, v49
	v_add_f16_e32 v47, v47, v20
	v_fmamk_f16 v72, v57, 0xbbeb, v66
	v_pk_mul_f16 v75, 0x3abbbbad, v56 op_sel_hi:[1,0]
	v_pk_add_f16 v69, v69, v70
	v_pk_fma_f16 v70, 0x3bebba0c, v55, v74 op_sel_hi:[1,0,1]
	v_add_f16_e32 v71, v71, v73
	v_pk_mul_f16 v73, 0xb93db08e, v48 op_sel_hi:[1,0]
	v_pk_mul_f16 v74, 0xba0cbbeb, v49 op_sel_hi:[1,0]
	v_mul_f16_e32 v61, 0x3853, v51
	v_add_f16_e32 v47, v47, v8
	v_add_f16_e32 v68, v72, v68
	v_fmamk_f16 v72, v57, 0x3482, v75
	v_pk_add_f16 v69, v69, v70
	v_pk_fma_f16 v70, 0x3853b482, v57, v75 op_sel_hi:[1,0,1]
	v_pk_mul_f16 v75, 0xb08ebbad, v50 op_sel_hi:[1,0]
	v_pk_fma_f16 v76, 0xba0cbbeb, v49, v73 op_sel_hi:[1,0,1]
	v_pk_mul_f16 v77, 0x3beb3482, v51 op_sel_hi:[1,0]
	v_bfi_b32 v58, 0xffff, v58, v73
	v_bfi_b32 v59, 0xffff, v59, v74
	v_pk_mul_f16 v49, 0x3b473beb, v49 op_sel_hi:[1,0]
	v_mul_f16_e32 v63, 0xba0c, v53
	v_add_f16_e32 v47, v47, v9
	v_pk_mul_f16 v78, 0x3abb36a6, v52 op_sel_hi:[1,0]
	v_pk_mul_f16 v79, 0xb8533b47, v53 op_sel_hi:[1,0]
	v_pk_add_f16 v76, v3, v76 op_sel_hi:[0,1]
	v_pk_fma_f16 v81, 0x3beb3482, v51, v75 op_sel_hi:[1,0,1]
	v_pk_add_f16 v58, v58, v59 neg_lo:[0,1] neg_hi:[0,1]
	v_bfi_b32 v59, 0xffff, v60, v75
	v_bfi_b32 v60, 0xffff, v61, v77
	v_pk_fma_f16 v48, 0x36a6b08e, v48, v49 op_sel_hi:[1,0,1]
	v_pk_mul_f16 v49, 0x3a0cb482, v51 op_sel_hi:[1,0]
	v_mul_f16_e32 v65, 0x3b47, v55
	v_add_f16_e32 v47, v47, v28
	v_pk_mul_f16 v80, 0xbbad3abb, v54 op_sel_hi:[1,0]
	v_pk_mul_f16 v73, 0xb482b853, v55 op_sel_hi:[1,0]
	v_pk_add_f16 v76, v76, v81
	v_pk_fma_f16 v81, 0xb8533b47, v53, v78 op_sel_hi:[1,0,1]
	v_pk_add_f16 v58, v3, v58 op_sel_hi:[0,1]
	v_pk_add_f16 v59, v59, v60 neg_lo:[0,1] neg_hi:[0,1]
	v_bfi_b32 v60, 0xffff, v62, v78
	v_bfi_b32 v62, 0xffff, v63, v79
	v_pk_add_f16 v3, v3, v48 op_sel_hi:[0,1]
	v_pk_fma_f16 v48, 0xb93dbbad, v50, v49 op_sel_hi:[1,0,1]
	v_pk_mul_f16 v49, 0xb482bb47, v53 op_sel_hi:[1,0]
	v_mul_f16_e32 v67, 0xbbeb, v57
	v_add_f16_e32 v47, v31, v47
	v_pk_mul_f16 v74, 0x36a6b93d, v56 op_sel_hi:[1,0]
	v_pk_mul_f16 v61, 0x3b47ba0c, v57 op_sel_hi:[1,0]
	v_pk_add_f16 v75, v76, v81
	v_pk_fma_f16 v76, 0xb482b853, v55, v80 op_sel_hi:[1,0,1]
	v_pk_add_f16 v58, v58, v59
	v_pk_add_f16 v51, v60, v62 neg_lo:[0,1] neg_hi:[0,1]
	v_bfi_b32 v59, 0xffff, v64, v80
	v_bfi_b32 v60, 0xffff, v65, v73
	v_pk_add_f16 v3, v3, v48
	v_pk_fma_f16 v48, 0xbbad36a6, v52, v49 op_sel_hi:[1,0,1]
	v_pk_mul_f16 v49, 0xbbeb3853, v55 op_sel_hi:[1,0]
	v_add_f16_e32 v47, v36, v47
	v_pk_add_f16 v63, v75, v76
	v_pk_fma_f16 v50, 0x3b47ba0c, v57, v74 op_sel_hi:[1,0,1]
	v_pk_add_f16 v51, v58, v51
	v_pk_add_f16 v53, v59, v60 neg_lo:[0,1] neg_hi:[0,1]
	v_bfi_b32 v52, 0xffff, v66, v74
	v_bfi_b32 v55, 0xffff, v67, v61
	v_pk_add_f16 v3, v3, v48
	v_pk_fma_f16 v48, 0xb08e3abb, v54, v49 op_sel_hi:[1,0,1]
	v_pk_mul_f16 v49, 0xb8533a0c, v57 op_sel_hi:[1,0]
	v_add_f16_e32 v47, v38, v47
	v_pk_add_f16 v51, v51, v53
	v_pk_add_f16 v52, v52, v55 neg_lo:[0,1] neg_hi:[0,1]
	v_pk_add_f16 v53, v50, v63
	v_pk_add_f16 v54, v70, v69
	;; [unrolled: 1-line block ×3, first 2 shown]
	v_pk_fma_f16 v55, 0x3abbb93d, v56, v49 op_sel_hi:[1,0,1]
	v_pk_add_f16 v50, v52, v51
	v_alignbit_b32 v49, v68, v53, 16
	v_alignbit_b32 v48, v53, v54, 16
	v_pack_b32_f16 v47, v47, v54
	v_pk_add_f16 v3, v55, v3
	v_add_f16_e32 v51, v72, v71
	ds_store_b128 v46, v[47:50] offset:2178
	ds_store_b32 v46, v3 offset:2194
	ds_store_b16 v46, v51 offset:2198
.LBB0_15:
	s_wait_alu 0xfffe
	s_or_b32 exec_lo, exec_lo, s1
	v_add_f16_e32 v3, v4, v45
	v_sub_f16_e32 v24, v24, v29
	v_add_f16_e32 v45, v45, v5
	v_sub_f16_e32 v14, v14, v27
	v_add_f16_e32 v27, v43, v34
	v_add_f16_e32 v3, v3, v44
	;; [unrolled: 1-line block ×3, first 2 shown]
	v_sub_f16_e32 v13, v13, v26
	v_add_f16_e32 v26, v42, v35
	v_pk_mul_f16 v51, 0xbb47b853, v24 op_sel_hi:[1,0]
	v_add_f16_e32 v3, v3, v43
	v_mul_f16_e32 v43, 0xb482, v24
	v_pk_mul_f16 v52, 0xba0cbb47, v14 op_sel_hi:[1,0]
	v_sub_f16_e32 v12, v12, v23
	v_fmamk_f16 v56, v45, 0x3abb, v51
	v_add_f16_e32 v3, v3, v42
	v_mul_f16_e32 v42, 0x3853, v14
	v_fma_f16 v53, v45, 0xbbad, -v43
	v_add_f16_e32 v44, v41, v40
	v_mul_f16_e32 v49, 0xba0c, v13
	v_add_f16_e32 v3, v3, v41
	v_fma_f16 v54, v29, 0x3abb, -v42
	v_add_f16_e32 v53, v53, v4
	v_pk_fma_f16 v51, 0x36a63abb, v45, v51 op_sel_hi:[1,0,1] neg_lo:[0,0,1] neg_hi:[0,0,1]
	v_mul_f16_e32 v41, 0x3b47, v12
	v_add_f16_e32 v3, v3, v40
	v_pk_mul_f16 v40, 0x3482bbeb, v13 op_sel_hi:[1,0]
	v_add_f16_e32 v53, v54, v53
	v_add_f16_e32 v54, v56, v4
	v_fma_f16 v55, v27, 0xb93d, -v49
	v_add_f16_e32 v3, v3, v35
	v_fma_f16 v35, v26, 0x36a6, -v41
	v_sub_f16_e32 v7, v7, v10
	v_mul_f16_e32 v23, 0xbbad, v45
	v_add_f16_e32 v53, v55, v53
	v_add_f16_e32 v3, v3, v34
	v_fmamk_f16 v34, v29, 0x36a6, v52
	v_pk_fma_f16 v52, 0xb93d36a6, v29, v52 op_sel_hi:[1,0,1] neg_lo:[0,0,1] neg_hi:[0,0,1]
	v_pk_mul_f16 v55, 0xb8533b47, v13 op_sel_hi:[1,0]
	v_add_f16_e32 v53, v35, v53
	v_add_f16_e32 v3, v3, v30
	v_pk_add_f16 v30, v51, v4 op_sel_hi:[1,0]
	v_fmamk_f16 v51, v27, 0xb08e, v40
	v_add_f16_e32 v34, v34, v54
	v_pk_mul_f16 v35, 0x3abbbbad, v44 op_sel_hi:[1,0]
	v_add_f16_e32 v54, v3, v5
	v_pk_add_f16 v3, v52, v30
	v_pk_fma_f16 v5, 0xbbadb08e, v27, v40 op_sel_hi:[1,0,1] neg_lo:[0,0,1] neg_hi:[0,0,1]
	v_pk_mul_f16 v30, 0x3bebba0c, v12 op_sel_hi:[1,0]
	v_add_f16_e32 v10, v51, v34
	v_pk_mul_f16 v34, 0xba0cbbeb, v24 op_sel_hi:[1,0]
	v_pk_mul_f16 v40, 0x3853b482, v7 op_sel_hi:[1,0]
	v_pk_add_f16 v3, v5, v3
	v_fmamk_f16 v5, v26, 0xb93d, v30
	v_pk_mul_f16 v52, 0x3beb3482, v14 op_sel_hi:[1,0]
	v_pk_fma_f16 v51, 0xb93db08e, v45, v34 op_sel_hi:[1,0,1] neg_lo:[0,0,1] neg_hi:[0,0,1]
	v_pk_mul_f16 v24, 0xbb47bbeb, v24 op_sel_hi:[1,0]
	v_pk_mul_f16 v14, 0xba0c3482, v14 op_sel_hi:[1,0]
	v_add_f16_e32 v5, v5, v10
	v_pk_fma_f16 v10, 0xb08eb93d, v26, v30 op_sel_hi:[1,0,1] neg_lo:[0,0,1] neg_hi:[0,0,1]
	v_add_f16_e32 v30, v35, v40
	v_pk_add_f16 v35, v51, v4 op_sel_hi:[1,0]
	v_pk_fma_f16 v51, 0xb08ebbad, v29, v52 op_sel_hi:[1,0,1] neg_lo:[0,0,1] neg_hi:[0,0,1]
	v_pk_fma_f16 v24, 0x36a6b08e, v45, v24 op_sel_hi:[1,0,1]
	v_pk_add_f16 v10, v10, v3
	v_add_f16_e32 v57, v30, v5
	v_pk_fma_f16 v5, 0x3abb36a6, v27, v55 op_sel_hi:[1,0,1] neg_lo:[0,0,1] neg_hi:[0,0,1]
	v_pk_add_f16 v3, v51, v35
	v_pk_mul_f16 v30, 0xb482b853, v12 op_sel_hi:[1,0]
	v_pk_mul_f16 v35, 0xb93db08e, v45 op_sel_hi:[1,0]
	v_mul_f16_e32 v47, 0x3abb, v29
	v_pk_fma_f16 v56, 0x3abbbbad, v44, v40 op_sel_hi:[1,0,1] neg_lo:[0,0,1] neg_hi:[0,0,1]
	v_pk_add_f16 v3, v5, v3
	v_pk_fma_f16 v5, 0xbbad3abb, v26, v30 op_sel_hi:[1,0,1] neg_lo:[0,0,1] neg_hi:[0,0,1]
	v_pk_mul_f16 v40, 0xb08ebbad, v29 op_sel_hi:[1,0]
	v_pk_mul_f16 v13, 0x34823b47, v13 op_sel_hi:[1,0]
	v_mul_f16_e32 v48, 0xb93d, v27
	v_pk_mul_f16 v45, 0x3abb36a6, v27 op_sel_hi:[1,0]
	v_pk_add_f16 v58, v5, v3
	v_pk_add_f16 v3, v24, v4 op_sel_hi:[1,0]
	v_pk_fma_f16 v5, 0xb93dbbad, v29, v14 op_sel_hi:[1,0,1]
	v_bfi_b32 v14, 0xffff, v23, v35
	v_bfi_b32 v23, 0xffff, v43, v34
	v_pk_mul_f16 v12, 0x3bebb853, v12 op_sel_hi:[1,0]
	v_mul_f16_e32 v50, 0x36a6, v26
	v_pk_add_f16 v3, v5, v3
	v_pk_fma_f16 v5, 0xbbad36a6, v27, v13 op_sel_hi:[1,0,1]
	v_pk_add_f16 v13, v14, v23
	v_bfi_b32 v14, 0xffff, v47, v40
	v_bfi_b32 v23, 0xffff, v42, v52
	v_pk_mul_f16 v51, 0xbbad3abb, v26 op_sel_hi:[1,0]
	v_pk_add_f16 v3, v5, v3
	v_pk_fma_f16 v5, 0xb08e3abb, v26, v12 op_sel_hi:[1,0,1]
	v_pk_add_f16 v4, v13, v4 op_sel_hi:[1,0]
	v_pk_add_f16 v12, v14, v23
	v_bfi_b32 v13, 0xffff, v48, v45
	v_bfi_b32 v14, 0xffff, v49, v55
	v_pk_mul_f16 v24, 0x36a6b93d, v44 op_sel_hi:[1,0]
	v_pk_mul_f16 v27, 0x3b47ba0c, v7 op_sel_hi:[1,0]
	v_pk_add_f16 v47, v5, v3
	v_mul_f16_e32 v3, 0xbbeb, v7
	v_pk_add_f16 v4, v12, v4
	v_pk_add_f16 v5, v13, v14
	v_bfi_b32 v12, 0xffff, v50, v51
	v_bfi_b32 v13, 0xffff, v41, v30
	v_mul_f16_e32 v14, 0xb08e, v44
	v_pk_mul_f16 v48, 0x3853ba0c, v7 op_sel_hi:[1,0]
	v_mad_i32_i24 v7, 0xffffffec, v2, v46
	v_pk_fma_f16 v45, 0x36a6b93d, v44, v27 op_sel_hi:[1,0,1] neg_lo:[0,0,1] neg_hi:[0,0,1]
	v_fma_f16 v49, v44, 0xb08e, -v3
	v_pk_add_f16 v50, v5, v4
	v_pk_add_f16 v51, v12, v13
	v_bfi_b32 v52, 0xffff, v14, v24
	v_bfi_b32 v55, 0xffff, v3, v27
	global_wb scope:SCOPE_SE
	s_wait_dscnt 0x0
	s_barrier_signal -1
	s_barrier_wait -1
	global_inv scope:SCOPE_SE
	ds_load_u16 v27, v7 offset:1386
	ds_load_u16 v26, v7 offset:2574
	;; [unrolled: 1-line block ×4, first 2 shown]
	ds_load_u16 v14, v7
	ds_load_u16 v13, v7 offset:198
	ds_load_u16 v12, v7 offset:396
	;; [unrolled: 1-line block ×13, first 2 shown]
	v_pk_fma_f16 v44, 0x3abbb93d, v44, v48 op_sel_hi:[1,0,1]
	v_pk_add_f16 v48, v51, v50
	v_pk_add_f16 v50, v52, v55
	;; [unrolled: 1-line block ×3, first 2 shown]
	v_add_f16_e32 v49, v49, v53
	v_pk_add_f16 v51, v56, v10
	v_pk_add_f16 v44, v44, v47
	;; [unrolled: 1-line block ×3, first 2 shown]
	v_add_nc_u32_e32 v10, 0x63, v2
	v_alignbit_b32 v49, v49, v45, 16
	v_alignbit_b32 v48, v45, v51, 16
	v_pack_b32_f16 v47, v54, v51
	global_wb scope:SCOPE_SE
	s_wait_dscnt 0x0
	s_barrier_signal -1
	s_barrier_wait -1
	global_inv scope:SCOPE_SE
	ds_store_b128 v46, v[47:50]
	ds_store_b32 v46, v44 offset:16
	ds_store_b16 v46, v57 offset:20
	s_and_saveexec_b32 s1, s0
	s_cbranch_execz .LBB0_17
; %bb.16:
	v_add_f16_e32 v44, v6, v39
	v_sub_f16_e32 v22, v22, v36
	v_sub_f16_e32 v20, v20, v28
	;; [unrolled: 1-line block ×3, first 2 shown]
	v_add_f16_e32 v39, v39, v16
	v_add_f16_e32 v36, v44, v37
	;; [unrolled: 1-line block ×3, first 2 shown]
	v_sub_f16_e32 v21, v21, v31
	v_mul_f16_e32 v45, 0x3853, v22
	v_add_f16_e32 v37, v33, v18
	v_add_f16_e32 v28, v36, v33
	v_mul_f16_e32 v36, 0xb482, v25
	v_add_f16_e32 v31, v32, v19
	v_mul_f16_e32 v46, 0xba0c, v21
	v_pk_mul_f16 v49, 0xbb47b853, v25 op_sel_hi:[1,0]
	v_add_f16_e32 v28, v28, v32
	v_fma_f16 v52, v39, 0xbbad, -v36
	v_fma_f16 v54, v38, 0x3abb, -v45
	v_mul_f16_e32 v48, 0x3b47, v20
	v_pk_mul_f16 v50, 0xba0cbb47, v22 op_sel_hi:[1,0]
	v_add_f16_e32 v28, v28, v11
	v_add_f16_e32 v52, v6, v52
	v_fma_f16 v55, v37, 0xb93d, -v46
	v_fmamk_f16 v56, v39, 0x3abb, v49
	v_pk_fma_f16 v49, 0x36a63abb, v39, v49 op_sel_hi:[1,0,1] neg_lo:[0,0,1] neg_hi:[0,0,1]
	v_add_f16_e32 v28, v28, v15
	v_add_f16_e32 v52, v52, v54
	v_pk_mul_f16 v51, 0x3482bbeb, v21 op_sel_hi:[1,0]
	v_add_f16_e32 v54, v6, v56
	v_pk_add_f16 v49, v6, v49 op_sel_hi:[0,1]
	v_add_f16_e32 v19, v28, v19
	v_fma_f16 v28, v31, 0x36a6, -v48
	v_add_f16_e32 v52, v52, v55
	v_pk_mul_f16 v53, 0x3bebba0c, v20 op_sel_hi:[1,0]
	v_add_f16_e32 v11, v11, v15
	v_add_f16_e32 v18, v18, v19
	v_fmamk_f16 v19, v38, 0x36a6, v50
	v_pk_fma_f16 v50, 0xb93d36a6, v38, v50 op_sel_hi:[1,0,1] neg_lo:[0,0,1] neg_hi:[0,0,1]
	v_add_f16_e32 v28, v52, v28
	v_sub_f16_e32 v8, v8, v9
	v_add_f16_e32 v17, v17, v18
	v_fmamk_f16 v18, v37, 0xb08e, v51
	v_add_f16_e32 v19, v54, v19
	v_pk_add_f16 v15, v49, v50
	v_pk_mul_f16 v9, 0xba0cbbeb, v25 op_sel_hi:[1,0]
	v_add_f16_e32 v52, v16, v17
	v_pk_fma_f16 v16, 0xbbadb08e, v37, v51 op_sel_hi:[1,0,1] neg_lo:[0,0,1] neg_hi:[0,0,1]
	v_add_f16_e32 v17, v19, v18
	v_fmamk_f16 v18, v31, 0xb93d, v53
	v_mul_f16_e32 v33, 0xbbad, v39
	v_pk_mul_f16 v49, 0x3beb3482, v22 op_sel_hi:[1,0]
	v_pk_add_f16 v15, v15, v16
	v_pk_fma_f16 v16, 0xb08eb93d, v31, v53 op_sel_hi:[1,0,1] neg_lo:[0,0,1] neg_hi:[0,0,1]
	v_add_f16_e32 v19, v17, v18
	v_pk_mul_f16 v17, 0x3853b482, v8 op_sel_hi:[1,0]
	v_pk_fma_f16 v18, 0xb93db08e, v39, v9 op_sel_hi:[1,0,1] neg_lo:[0,0,1] neg_hi:[0,0,1]
	v_pk_mul_f16 v25, 0xbb47bbeb, v25 op_sel_hi:[1,0]
	v_pk_add_f16 v15, v15, v16
	v_pk_mul_f16 v16, 0x3abbbbad, v11 op_sel_hi:[1,0]
	v_pk_fma_f16 v50, 0x3abbbbad, v11, v17 op_sel_hi:[1,0,1] neg_lo:[0,0,1] neg_hi:[0,0,1]
	v_mul_f16_e32 v44, 0x3abb, v38
	v_pk_add_f16 v18, v6, v18 op_sel_hi:[0,1]
	v_pk_fma_f16 v51, 0xb08ebbad, v38, v49 op_sel_hi:[1,0,1] neg_lo:[0,0,1] neg_hi:[0,0,1]
	v_add_f16_e32 v54, v16, v17
	v_pk_mul_f16 v16, 0xb93db08e, v39 op_sel_hi:[1,0]
	v_pk_mul_f16 v53, 0xb8533b47, v21 op_sel_hi:[1,0]
	v_pk_add_f16 v15, v50, v15
	v_pk_mul_f16 v50, 0xb08ebbad, v38 op_sel_hi:[1,0]
	v_pk_fma_f16 v25, 0x36a6b08e, v39, v25 op_sel_hi:[1,0,1]
	v_pk_mul_f16 v22, 0xba0c3482, v22 op_sel_hi:[1,0]
	v_bfi_b32 v16, 0xffff, v33, v16
	v_bfi_b32 v9, 0xffff, v36, v9
	v_mul_f16_e32 v32, 0xb93d, v37
	v_pk_add_f16 v17, v18, v51
	v_pk_fma_f16 v18, 0x3abb36a6, v37, v53 op_sel_hi:[1,0,1] neg_lo:[0,0,1] neg_hi:[0,0,1]
	v_pk_mul_f16 v55, 0x3abb36a6, v37 op_sel_hi:[1,0]
	v_pk_add_f16 v25, v6, v25 op_sel_hi:[0,1]
	v_pk_fma_f16 v22, 0xb93dbbad, v38, v22 op_sel_hi:[1,0,1]
	v_pk_mul_f16 v21, 0x34823b47, v21 op_sel_hi:[1,0]
	v_pk_add_f16 v9, v16, v9
	v_bfi_b32 v16, 0xffff, v44, v50
	v_bfi_b32 v33, 0xffff, v45, v49
	v_mul_f16_e32 v47, 0x36a6, v31
	v_pk_mul_f16 v51, 0xb482b853, v20 op_sel_hi:[1,0]
	v_pk_add_f16 v17, v17, v18
	v_pk_mul_f16 v18, 0xbbad3abb, v31 op_sel_hi:[1,0]
	v_pk_add_f16 v22, v25, v22
	v_pk_fma_f16 v21, 0xbbad36a6, v37, v21 op_sel_hi:[1,0,1]
	v_pk_add_f16 v6, v6, v9 op_sel_hi:[0,1]
	v_pk_add_f16 v9, v16, v33
	v_bfi_b32 v16, 0xffff, v32, v55
	v_bfi_b32 v25, 0xffff, v46, v53
	v_pk_fma_f16 v56, 0xbbad3abb, v31, v51 op_sel_hi:[1,0,1] neg_lo:[0,0,1] neg_hi:[0,0,1]
	v_pk_mul_f16 v36, 0x3b47ba0c, v8 op_sel_hi:[1,0]
	v_pk_mul_f16 v32, 0x36a6b93d, v11 op_sel_hi:[1,0]
	v_pk_add_f16 v21, v22, v21
	v_pk_add_f16 v6, v6, v9
	;; [unrolled: 1-line block ×3, first 2 shown]
	v_bfi_b32 v16, 0xffff, v47, v18
	v_bfi_b32 v18, 0xffff, v48, v51
	v_mul_f16_e32 v22, 0xb08e, v11
	v_mul_f16_e32 v25, 0xbbeb, v8
	v_pk_mul_f16 v20, 0x3bebb853, v20 op_sel_hi:[1,0]
	v_pk_add_f16 v17, v17, v56
	v_pk_fma_f16 v33, 0x36a6b93d, v11, v36 op_sel_hi:[1,0,1] neg_lo:[0,0,1] neg_hi:[0,0,1]
	v_pk_add_f16 v6, v6, v9
	v_pk_add_f16 v9, v16, v18
	v_bfi_b32 v16, 0xffff, v22, v32
	v_bfi_b32 v18, 0xffff, v25, v36
	v_fma_f16 v22, v11, 0xb08e, -v25
	v_pk_fma_f16 v20, 0xb08e3abb, v31, v20 op_sel_hi:[1,0,1]
	v_pk_mul_f16 v8, 0x3853ba0c, v8 op_sel_hi:[1,0]
	v_pk_add_f16 v6, v6, v9
	v_pk_add_f16 v9, v16, v18
	;; [unrolled: 1-line block ×3, first 2 shown]
	v_add_f16_e32 v17, v22, v28
	v_pk_add_f16 v20, v21, v20
	v_pk_fma_f16 v8, 0x3abbb93d, v11, v8 op_sel_hi:[1,0,1]
	v_pk_add_f16 v18, v9, v6
	v_mad_u32_u24 v6, v10, 22, 0
	v_alignbit_b32 v17, v17, v16, 16
	v_alignbit_b32 v16, v16, v15, 16
	v_pack_b32_f16 v15, v52, v15
	v_pk_add_f16 v8, v8, v20
	v_add_f16_e32 v9, v54, v19
	ds_store_b128 v6, v[15:18]
	ds_store_b32 v6, v8 offset:16
	ds_store_b16 v6, v9 offset:20
.LBB0_17:
	s_wait_alu 0xfffe
	s_or_b32 exec_lo, exec_lo, s1
	v_add_nc_u32_e32 v9, 0x18c, v2
	v_add_nc_u32_e32 v8, 0x1ef, v2
	v_and_b32_e32 v19, 0xff, v2
	v_and_b32_e32 v20, 0xff, v10
	v_add_nc_u32_e32 v11, 0xc6, v2
	v_and_b32_e32 v6, 0xffff, v9
	v_and_b32_e32 v16, 0xffff, v8
	v_mul_lo_u16 v18, 0x75, v19
	global_wb scope:SCOPE_SE
	s_wait_dscnt 0x0
	s_barrier_signal -1
	v_mul_u32_u24_e32 v15, 0xba2f, v6
	v_mul_u32_u24_e32 v17, 0xba2f, v16
	v_lshrrev_b16 v22, 8, v18
	s_barrier_wait -1
	global_inv scope:SCOPE_SE
	v_lshrrev_b32_e32 v31, 19, v15
	v_lshrrev_b32_e32 v32, 19, v17
	v_mul_lo_u16 v17, 0x75, v20
	v_add_nc_u32_e32 v15, 0x129, v2
	v_mul_lo_u16 v19, 0xf9, v19
	v_mul_lo_u16 v21, v31, 11
	;; [unrolled: 1-line block ×3, first 2 shown]
	v_lshrrev_b16 v25, 8, v17
	v_mul_u32_u24_e32 v84, 0x42, v31
	v_mul_u32_u24_e32 v85, 0x42, v32
	v_sub_nc_u16 v17, v9, v21
	v_sub_nc_u16 v21, v2, v22
	;; [unrolled: 1-line block ×4, first 2 shown]
	v_mul_lo_u16 v20, 0xf9, v20
	v_and_b32_e32 v61, 0xffff, v17
	v_lshrrev_b16 v17, 1, v21
	v_and_b32_e32 v62, 0xffff, v18
	v_lshrrev_b16 v18, 1, v28
	v_lshrrev_b16 v19, 13, v19
	v_lshlrev_b32_e32 v21, 3, v61
	v_and_b32_e32 v17, 0x7f, v17
	v_lshlrev_b32_e32 v28, 3, v62
	v_and_b32_e32 v33, 0x7f, v18
	v_and_b32_e32 v18, 0xffff, v11
	global_load_b64 v[49:50], v21, s[4:5]
	v_lshlrev_b32_e32 v61, 1, v61
	global_load_b64 v[51:52], v28, s[4:5]
	v_add_nc_u16 v21, v17, v22
	v_and_b32_e32 v17, 0xffff, v15
	v_add_nc_u16 v22, v33, v25
	v_mul_u32_u24_e32 v25, 0xba2f, v18
	v_lshlrev_b32_e32 v62, 1, v62
	v_lshrrev_b16 v63, 3, v21
	v_mul_u32_u24_e32 v21, 0xba2f, v17
	v_lshrrev_b16 v64, 3, v22
	v_lshrrev_b32_e32 v36, 19, v25
	v_add3_u32 v61, 0, v84, v61
	v_mul_lo_u16 v22, v63, 11
	v_lshrrev_b32_e32 v37, 19, v21
	v_mul_lo_u16 v21, v64, 11
	v_mul_lo_u16 v25, v36, 11
	v_and_b32_e32 v63, 0xffff, v63
	v_sub_nc_u16 v22, v2, v22
	v_mul_lo_u16 v28, v37, 11
	v_sub_nc_u16 v21, v10, v21
	v_sub_nc_u16 v25, v11, v25
	v_and_b32_e32 v64, 0xffff, v64
	v_and_b32_e32 v65, 0xff, v22
	v_sub_nc_u16 v22, v15, v28
	v_and_b32_e32 v66, 0xff, v21
	v_and_b32_e32 v67, 0xffff, v25
	v_mul_u32_u24_e32 v82, 0x42, v36
	v_lshlrev_b32_e32 v21, 3, v65
	v_and_b32_e32 v68, 0xffff, v22
	v_lshlrev_b32_e32 v22, 3, v66
	v_lshlrev_b32_e32 v25, 3, v67
	v_mul_u32_u24_e32 v83, 0x42, v37
	global_load_b64 v[53:54], v21, s[4:5]
	v_lshlrev_b32_e32 v21, 3, v68
	s_clause 0x2
	global_load_b64 v[55:56], v22, s[4:5]
	global_load_b64 v[57:58], v25, s[4:5]
	;; [unrolled: 1-line block ×3, first 2 shown]
	ds_load_u16 v69, v7 offset:1386
	ds_load_u16 v70, v7 offset:2574
	;; [unrolled: 1-line block ×4, first 2 shown]
	ds_load_u16 v48, v7
	ds_load_u16 v47, v7 offset:198
	ds_load_u16 v46, v7 offset:396
	;; [unrolled: 1-line block ×13, first 2 shown]
	v_lshlrev_b32_e32 v67, 1, v67
	v_lshlrev_b32_e32 v68, 1, v68
	v_mul_u32_u24_e32 v63, 0x42, v63
	v_mul_u32_u24_e32 v64, 0x42, v64
	v_lshlrev_b32_e32 v65, 1, v65
	v_lshlrev_b32_e32 v66, 1, v66
	v_add3_u32 v67, 0, v82, v67
	v_add3_u32 v68, 0, v83, v68
	v_add3_u32 v62, 0, v85, v62
	v_add3_u32 v63, 0, v63, v65
	v_add3_u32 v64, 0, v64, v66
	v_mul_u32_u24_e32 v21, 0xf83f, v18
	v_mul_u32_u24_e32 v25, 0xf83f, v17
	;; [unrolled: 1-line block ×4, first 2 shown]
	v_lshrrev_b16 v20, 13, v20
	v_mul_lo_u16 v39, v19, 33
	v_lshrrev_b32_e32 v22, 21, v21
	v_lshrrev_b32_e32 v25, 21, v25
	;; [unrolled: 1-line block ×4, first 2 shown]
	v_mul_lo_u16 v81, v20, 33
	v_sub_nc_u16 v31, v2, v39
	v_mul_lo_u16 v36, v22, 33
	v_mul_lo_u16 v37, v25, 33
	;; [unrolled: 1-line block ×4, first 2 shown]
	v_sub_nc_u16 v32, v10, v81
	v_and_b32_e32 v31, 0xff, v31
	v_sub_nc_u16 v36, v11, v36
	v_sub_nc_u16 v37, v15, v37
	;; [unrolled: 1-line block ×4, first 2 shown]
	v_and_b32_e32 v32, 0xff, v32
	v_lshlrev_b32_e32 v81, 3, v31
	v_and_b32_e32 v36, 0xffff, v36
	v_and_b32_e32 v37, 0xffff, v37
	;; [unrolled: 1-line block ×4, first 2 shown]
	v_lshlrev_b32_e32 v86, 3, v32
	v_lshlrev_b32_e32 v87, 3, v36
	global_wb scope:SCOPE_SE
	s_wait_loadcnt_dscnt 0x0
	s_barrier_signal -1
	s_barrier_wait -1
	global_inv scope:SCOPE_SE
	v_mul_u32_u24_e32 v18, 0xa57f, v18
	v_mul_u32_u24_e32 v17, 0xa57f, v17
	v_mul_u32_u24_e32 v16, 0xa57f, v16
	v_mul_u32_u24_e32 v22, 0xc6, v22
	v_mul_u32_u24_e32 v25, 0xc6, v25
	v_lshrrev_b32_e32 v18, 22, v18
	v_lshrrev_b32_e32 v17, 22, v17
	v_lshrrev_b32_e32 v16, 22, v16
	v_mul_u32_u24_e32 v28, 0xc6, v28
	v_mul_u32_u24_e32 v21, 0xc6, v21
	v_mul_lo_u16 v18, 0x63, v18
	v_mul_lo_u16 v17, 0x63, v17
	;; [unrolled: 1-line block ×3, first 2 shown]
	v_and_b32_e32 v19, 0xffff, v19
	v_and_b32_e32 v20, 0xffff, v20
	v_sub_nc_u16 v18, v11, v18
	v_sub_nc_u16 v15, v15, v17
	v_sub_nc_u16 v16, v8, v16
	v_mul_u32_u24_e32 v19, 0xc6, v19
	v_mul_u32_u24_e32 v20, 0xc6, v20
	v_lshrrev_b32_e32 v65, 16, v49
	v_lshrrev_b32_e32 v66, 16, v50
	;; [unrolled: 1-line block ×4, first 2 shown]
	s_delay_alu instid0(VALU_DEP_4)
	v_mul_f16_e32 v84, v75, v65
	v_mul_f16_e32 v65, v40, v65
	;; [unrolled: 1-line block ×8, first 2 shown]
	v_fmac_f16_e32 v84, v40, v49
	v_fma_f16 v40, v75, v49, -v65
	v_fmac_f16_e32 v85, v43, v50
	v_fma_f16 v43, v79, v50, -v66
	;; [unrolled: 2-line block ×4, first 2 shown]
	v_add_f16_e32 v49, v3, v84
	v_add_f16_e32 v50, v84, v85
	v_sub_f16_e32 v51, v40, v43
	v_add_f16_e32 v52, v33, v40
	v_add_f16_e32 v40, v40, v43
	;; [unrolled: 1-line block ×3, first 2 shown]
	v_sub_f16_e32 v78, v41, v42
	v_add_f16_e32 v79, v45, v41
	v_add_f16_e32 v41, v41, v42
	;; [unrolled: 1-line block ×3, first 2 shown]
	v_sub_f16_e32 v65, v84, v85
	v_sub_f16_e32 v80, v88, v89
	v_lshrrev_b32_e32 v82, 16, v53
	v_lshrrev_b32_e32 v83, 16, v54
	;; [unrolled: 1-line block ×7, first 2 shown]
	v_add_f16_e32 v49, v49, v85
	v_lshrrev_b32_e32 v85, 16, v60
	v_fmac_f16_e32 v3, -0.5, v50
	v_fmac_f16_e32 v33, -0.5, v40
	;; [unrolled: 1-line block ×4, first 2 shown]
	v_mul_f16_e32 v41, v76, v82
	v_add_f16_e32 v43, v52, v43
	v_add_f16_e32 v40, v66, v89
	v_mul_f16_e32 v50, v35, v82
	v_mul_f16_e32 v52, v77, v83
	;; [unrolled: 1-line block ×3, first 2 shown]
	v_add_f16_e32 v42, v79, v42
	v_mul_f16_e32 v75, v69, v84
	v_mul_f16_e32 v79, v27, v84
	;; [unrolled: 1-line block ×8, first 2 shown]
	v_fmamk_f16 v91, v51, 0xbaee, v3
	v_fmac_f16_e32 v3, 0x3aee, v51
	v_fmamk_f16 v51, v65, 0x3aee, v33
	v_fmac_f16_e32 v33, 0xbaee, v65
	v_fmamk_f16 v65, v78, 0xbaee, v5
	v_fmac_f16_e32 v5, 0x3aee, v78
	v_fmamk_f16 v78, v80, 0x3aee, v45
	v_fmac_f16_e32 v45, 0xbaee, v80
	v_mul_f16_e32 v80, v74, v92
	v_fmac_f16_e32 v41, v35, v53
	v_mul_f16_e32 v35, v72, v85
	v_mul_f16_e32 v92, v29, v92
	;; [unrolled: 1-line block ×3, first 2 shown]
	v_fma_f16 v50, v76, v53, -v50
	v_fmac_f16_e32 v52, v34, v54
	v_fma_f16 v34, v77, v54, -v66
	v_fmac_f16_e32 v75, v27, v55
	;; [unrolled: 2-line block ×4, first 2 shown]
	v_fmac_f16_e32 v89, v24, v58
	v_fmac_f16_e32 v80, v29, v59
	;; [unrolled: 1-line block ×3, first 2 shown]
	v_fma_f16 v30, v73, v57, -v88
	v_fma_f16 v24, v71, v58, -v90
	;; [unrolled: 1-line block ×4, first 2 shown]
	v_add_f16_e32 v54, v41, v52
	v_sub_f16_e32 v55, v50, v34
	v_add_f16_e32 v56, v48, v50
	v_add_f16_e32 v50, v50, v34
	;; [unrolled: 1-line block ×4, first 2 shown]
	v_sub_f16_e32 v59, v27, v26
	v_add_f16_e32 v60, v47, v27
	v_add_f16_e32 v27, v27, v26
	v_sub_f16_e32 v66, v75, v82
	v_add_f16_e32 v70, v84, v89
	v_add_f16_e32 v75, v80, v35
	;; [unrolled: 1-line block ×3, first 2 shown]
	v_sub_f16_e32 v71, v30, v24
	v_add_f16_e32 v72, v46, v30
	v_add_f16_e32 v30, v30, v24
	v_sub_f16_e32 v76, v29, v23
	v_add_f16_e32 v77, v44, v29
	v_add_f16_e32 v29, v29, v23
	v_sub_f16_e32 v41, v41, v52
	v_fmac_f16_e32 v14, -0.5, v54
	v_fmac_f16_e32 v48, -0.5, v50
	v_add_f16_e32 v69, v12, v84
	v_add_f16_e32 v74, v4, v80
	v_fmac_f16_e32 v13, -0.5, v58
	v_fmac_f16_e32 v47, -0.5, v27
	;; [unrolled: 1-line block ×4, first 2 shown]
	v_sub_f16_e32 v73, v84, v89
	v_sub_f16_e32 v79, v80, v35
	v_add_f16_e32 v52, v53, v52
	v_add_f16_e32 v34, v56, v34
	v_fmac_f16_e32 v46, -0.5, v30
	v_fmac_f16_e32 v44, -0.5, v29
	v_add_f16_e32 v30, v77, v23
	v_fmamk_f16 v23, v55, 0xbaee, v14
	v_fmamk_f16 v29, v41, 0x3aee, v48
	v_fmac_f16_e32 v14, 0x3aee, v55
	v_fmac_f16_e32 v48, 0xbaee, v41
	v_add_f16_e32 v50, v57, v82
	v_add_f16_e32 v53, v60, v26
	;; [unrolled: 1-line block ×5, first 2 shown]
	v_fmamk_f16 v35, v59, 0xbaee, v13
	v_fmac_f16_e32 v13, 0x3aee, v59
	v_fmamk_f16 v41, v66, 0x3aee, v47
	v_fmamk_f16 v54, v71, 0xbaee, v12
	v_fmac_f16_e32 v12, 0x3aee, v71
	v_fmamk_f16 v56, v76, 0xbaee, v4
	v_fmac_f16_e32 v47, 0xbaee, v66
	v_fmamk_f16 v55, v73, 0x3aee, v46
	v_fmac_f16_e32 v46, 0xbaee, v73
	v_fmac_f16_e32 v4, 0x3aee, v76
	v_fmamk_f16 v57, v79, 0x3aee, v44
	v_fmac_f16_e32 v44, 0xbaee, v79
	ds_store_b16 v63, v52
	ds_store_b16 v63, v23 offset:22
	ds_store_b16 v63, v14 offset:44
	ds_store_b16 v64, v50
	ds_store_b16 v64, v35 offset:22
	ds_store_b16 v64, v13 offset:44
	;; [unrolled: 3-line block ×6, first 2 shown]
	global_wb scope:SCOPE_SE
	s_wait_dscnt 0x0
	s_barrier_signal -1
	s_barrier_wait -1
	global_inv scope:SCOPE_SE
	ds_load_u16 v35, v7 offset:1386
	ds_load_u16 v50, v7 offset:2574
	;; [unrolled: 1-line block ×4, first 2 shown]
	ds_load_u16 v26, v7
	ds_load_u16 v24, v7 offset:198
	ds_load_u16 v23, v7 offset:396
	;; [unrolled: 1-line block ×13, first 2 shown]
	global_wb scope:SCOPE_SE
	s_wait_dscnt 0x0
	s_barrier_signal -1
	s_barrier_wait -1
	global_inv scope:SCOPE_SE
	ds_store_b16 v63, v34
	ds_store_b16 v63, v29 offset:22
	ds_store_b16 v63, v48 offset:44
	ds_store_b16 v64, v53
	ds_store_b16 v64, v41 offset:22
	ds_store_b16 v64, v47 offset:44
	;; [unrolled: 3-line block ×6, first 2 shown]
	global_wb scope:SCOPE_SE
	s_wait_dscnt 0x0
	s_barrier_signal -1
	s_barrier_wait -1
	global_inv scope:SCOPE_SE
	s_clause 0x2
	global_load_b64 v[29:30], v81, s[4:5] offset:88
	global_load_b64 v[33:34], v86, s[4:5] offset:88
	;; [unrolled: 1-line block ×3, first 2 shown]
	v_lshlrev_b32_e32 v3, 3, v37
	v_lshlrev_b32_e32 v4, 3, v38
	;; [unrolled: 1-line block ×3, first 2 shown]
	s_clause 0x2
	global_load_b64 v[42:43], v3, s[4:5] offset:88
	global_load_b64 v[44:45], v4, s[4:5] offset:88
	;; [unrolled: 1-line block ×3, first 2 shown]
	v_mul_u32_u24_e32 v27, 0xa57f, v6
	v_dual_mov_b32 v4, 0 :: v_dual_lshlrev_b32 v3, 1, v2
	v_and_b32_e32 v51, 0xffff, v16
	v_lshlrev_b32_e32 v16, 1, v37
	s_delay_alu instid0(VALU_DEP_4) | instskip(NEXT) | instid1(VALU_DEP_4)
	v_lshrrev_b32_e32 v27, 22, v27
	v_lshlrev_b64_e32 v[48:49], 2, v[3:4]
	s_delay_alu instid0(VALU_DEP_3) | instskip(NEXT) | instid1(VALU_DEP_3)
	v_add3_u32 v16, 0, v25, v16
	v_mul_lo_u16 v27, 0x63, v27
	s_delay_alu instid0(VALU_DEP_3) | instskip(NEXT) | instid1(VALU_DEP_2)
	v_add_co_u32 v5, s0, s4, v48
	v_sub_nc_u16 v17, v9, v27
	s_wait_alu 0xf1ff
	v_add_co_ci_u32_e64 v6, s0, s5, v49, s0
	v_lshlrev_b32_e32 v27, 1, v31
	v_lshlrev_b32_e32 v31, 1, v32
	v_and_b32_e32 v32, 0xffff, v18
	v_and_b32_e32 v48, 0xffff, v15
	;; [unrolled: 1-line block ×3, first 2 shown]
	v_lshlrev_b32_e32 v15, 1, v36
	v_lshlrev_b32_e32 v17, 1, v38
	;; [unrolled: 1-line block ×3, first 2 shown]
	v_add3_u32 v19, 0, v19, v27
	v_add3_u32 v20, 0, v20, v31
	;; [unrolled: 1-line block ×5, first 2 shown]
	ds_load_u16 v21, v7 offset:1386
	ds_load_u16 v22, v7 offset:2574
	;; [unrolled: 1-line block ×4, first 2 shown]
	ds_load_u16 v36, v7
	ds_load_u16 v37, v7 offset:198
	ds_load_u16 v38, v7 offset:396
	;; [unrolled: 1-line block ×13, first 2 shown]
	v_lshlrev_b32_e32 v27, 3, v32
	v_lshlrev_b32_e32 v31, 3, v48
	global_wb scope:SCOPE_SE
	s_wait_loadcnt_dscnt 0x0
	s_barrier_signal -1
	s_barrier_wait -1
	global_inv scope:SCOPE_SE
	v_lshrrev_b32_e32 v72, 16, v29
	v_lshrrev_b32_e32 v73, 16, v30
	;; [unrolled: 1-line block ×12, first 2 shown]
	v_mul_f16_e32 v84, v62, v72
	v_mul_f16_e32 v72, v60, v72
	;; [unrolled: 1-line block ×13, first 2 shown]
	v_fmac_f16_e32 v84, v60, v29
	v_mul_f16_e32 v60, v68, v81
	v_fma_f16 v29, v62, v29, -v72
	v_mul_f16_e32 v62, v67, v82
	v_fmac_f16_e32 v85, v65, v30
	v_mul_f16_e32 v65, v71, v83
	v_mul_f16_e32 v76, v56, v76
	;; [unrolled: 1-line block ×9, first 2 shown]
	v_fma_f16 v30, v64, v30, -v73
	v_fmac_f16_e32 v86, v35, v33
	v_fma_f16 v21, v21, v33, -v74
	v_fmac_f16_e32 v87, v50, v34
	;; [unrolled: 2-line block ×3, first 2 shown]
	v_fmac_f16_e32 v89, v52, v41
	v_fmac_f16_e32 v90, v58, v42
	;; [unrolled: 1-line block ×7, first 2 shown]
	v_fma_f16 v33, v55, v40, -v76
	v_fma_f16 v25, v25, v41, -v77
	;; [unrolled: 1-line block ×8, first 2 shown]
	v_add_f16_e32 v44, v84, v85
	v_sub_f16_e32 v45, v29, v30
	v_add_f16_e32 v46, v36, v29
	v_add_f16_e32 v29, v29, v30
	;; [unrolled: 1-line block ×3, first 2 shown]
	v_sub_f16_e32 v54, v21, v22
	v_add_f16_e32 v55, v37, v21
	v_add_f16_e32 v21, v21, v22
	v_add_f16_e32 v58, v88, v89
	v_add_f16_e32 v67, v90, v91
	v_add_f16_e32 v72, v92, v60
	v_add_f16_e32 v77, v62, v65
	v_add_f16_e32 v43, v26, v84
	v_sub_f16_e32 v59, v33, v25
	v_add_f16_e32 v61, v38, v33
	v_add_f16_e32 v33, v33, v25
	v_sub_f16_e32 v68, v34, v28
	v_add_f16_e32 v69, v39, v34
	v_add_f16_e32 v34, v34, v28
	;; [unrolled: 3-line block ×4, first 2 shown]
	v_sub_f16_e32 v47, v84, v85
	v_fmac_f16_e32 v26, -0.5, v44
	v_fmac_f16_e32 v36, -0.5, v29
	v_add_f16_e32 v50, v24, v86
	v_sub_f16_e32 v56, v86, v87
	v_add_f16_e32 v57, v23, v88
	v_add_f16_e32 v66, v13, v90
	;; [unrolled: 1-line block ×4, first 2 shown]
	v_fmac_f16_e32 v24, -0.5, v52
	v_fmac_f16_e32 v37, -0.5, v21
	;; [unrolled: 1-line block ×6, first 2 shown]
	v_sub_f16_e32 v64, v88, v89
	v_sub_f16_e32 v70, v90, v91
	;; [unrolled: 1-line block ×4, first 2 shown]
	v_add_f16_e32 v43, v43, v85
	v_add_f16_e32 v30, v46, v30
	v_fmac_f16_e32 v38, -0.5, v33
	v_fmac_f16_e32 v39, -0.5, v34
	;; [unrolled: 1-line block ×4, first 2 shown]
	v_fmamk_f16 v41, v45, 0xbaee, v26
	v_fmamk_f16 v44, v47, 0x3aee, v36
	v_fmac_f16_e32 v26, 0x3aee, v45
	v_fmac_f16_e32 v36, 0xbaee, v47
	v_add_f16_e32 v29, v50, v87
	v_add_f16_e32 v22, v55, v22
	;; [unrolled: 1-line block ×6, first 2 shown]
	v_fmamk_f16 v45, v54, 0xbaee, v24
	v_fmac_f16_e32 v24, 0x3aee, v54
	v_fmamk_f16 v46, v56, 0x3aee, v37
	v_fmamk_f16 v47, v59, 0xbaee, v23
	v_fmamk_f16 v52, v68, 0xbaee, v13
	v_fmamk_f16 v55, v73, 0xbaee, v12
	v_fmamk_f16 v57, v78, 0xbaee, v14
	v_add_f16_e32 v25, v61, v25
	v_add_f16_e32 v28, v69, v28
	;; [unrolled: 1-line block ×4, first 2 shown]
	v_fmac_f16_e32 v37, 0xbaee, v56
	v_fmac_f16_e32 v23, 0x3aee, v59
	v_fmamk_f16 v50, v64, 0x3aee, v38
	v_fmac_f16_e32 v38, 0xbaee, v64
	v_fmac_f16_e32 v13, 0x3aee, v68
	v_fmamk_f16 v54, v70, 0x3aee, v39
	;; [unrolled: 3-line block ×4, first 2 shown]
	v_fmac_f16_e32 v63, 0xbaee, v62
	ds_store_b16 v19, v43
	ds_store_b16 v19, v41 offset:66
	ds_store_b16 v19, v26 offset:132
	ds_store_b16 v20, v29
	ds_store_b16 v20, v45 offset:66
	ds_store_b16 v20, v24 offset:132
	ds_store_b16 v15, v21
	ds_store_b16 v15, v47 offset:66
	ds_store_b16 v15, v23 offset:132
	ds_store_b16 v16, v33
	ds_store_b16 v16, v52 offset:66
	ds_store_b16 v16, v13 offset:132
	ds_store_b16 v17, v34
	ds_store_b16 v17, v55 offset:66
	ds_store_b16 v17, v12 offset:132
	ds_store_b16 v18, v35
	ds_store_b16 v18, v57 offset:66
	ds_store_b16 v18, v14 offset:132
	global_wb scope:SCOPE_SE
	s_wait_dscnt 0x0
	s_barrier_signal -1
	s_barrier_wait -1
	global_inv scope:SCOPE_SE
	ds_load_u16 v24, v7 offset:1386
	ds_load_u16 v26, v7 offset:2574
	;; [unrolled: 1-line block ×4, first 2 shown]
	ds_load_u16 v34, v7
	ds_load_u16 v35, v7 offset:198
	ds_load_u16 v41, v7 offset:396
	;; [unrolled: 1-line block ×13, first 2 shown]
	global_wb scope:SCOPE_SE
	s_wait_dscnt 0x0
	s_barrier_signal -1
	s_barrier_wait -1
	global_inv scope:SCOPE_SE
	ds_store_b16 v19, v30
	ds_store_b16 v19, v44 offset:66
	ds_store_b16 v19, v36 offset:132
	ds_store_b16 v20, v22
	ds_store_b16 v20, v46 offset:66
	ds_store_b16 v20, v37 offset:132
	;; [unrolled: 3-line block ×6, first 2 shown]
	v_lshlrev_b32_e32 v18, 3, v49
	global_wb scope:SCOPE_SE
	s_wait_dscnt 0x0
	s_barrier_signal -1
	s_barrier_wait -1
	global_inv scope:SCOPE_SE
	s_clause 0x1
	global_load_b64 v[12:13], v[5:6], off offset:352
	global_load_b64 v[14:15], v27, s[4:5] offset:352
	v_lshlrev_b32_e32 v20, 3, v51
	s_clause 0x2
	global_load_b64 v[16:17], v31, s[4:5] offset:352
	global_load_b64 v[18:19], v18, s[4:5] offset:352
	;; [unrolled: 1-line block ×3, first 2 shown]
	v_lshl_add_u32 v25, v32, 1, 0
	v_lshl_add_u32 v27, v48, 1, 0
	;; [unrolled: 1-line block ×4, first 2 shown]
	ds_load_u16 v31, v7 offset:1386
	ds_load_u16 v32, v7 offset:2574
	;; [unrolled: 1-line block ×4, first 2 shown]
	ds_load_u16 v38, v7
	ds_load_u16 v39, v7 offset:198
	ds_load_u16 v40, v7 offset:396
	;; [unrolled: 1-line block ×13, first 2 shown]
	v_dual_mov_b32 v23, v4 :: v_dual_lshlrev_b32 v22, 1, v10
	v_dual_mov_b32 v11, v4 :: v_dual_lshlrev_b32 v10, 1, v11
	global_wb scope:SCOPE_SE
	s_wait_loadcnt_dscnt 0x0
	s_barrier_signal -1
	v_lshlrev_b64_e32 v[22:23], 2, v[22:23]
	s_barrier_wait -1
	v_lshlrev_b64_e32 v[10:11], 2, v[10:11]
	global_inv scope:SCOPE_SE
	v_add_co_u32 v22, s0, s4, v22
	s_wait_alu 0xf1ff
	v_add_co_ci_u32_e64 v23, s0, s5, v23, s0
	v_add_co_u32 v10, s0, s4, v10
	s_wait_alu 0xf1ff
	v_add_co_ci_u32_e64 v11, s0, s5, v11, s0
	v_lshrrev_b32_e32 v63, 16, v12
	v_lshrrev_b32_e32 v65, 16, v13
	;; [unrolled: 1-line block ×10, first 2 shown]
	v_mul_f16_e32 v74, v50, v63
	v_mul_f16_e32 v75, v57, v63
	;; [unrolled: 1-line block ×24, first 2 shown]
	v_fmac_f16_e32 v74, v57, v12
	v_fma_f16 v50, v50, v12, -v75
	v_fmac_f16_e32 v76, v60, v13
	v_fma_f16 v53, v53, v13, -v77
	;; [unrolled: 2-line block ×4, first 2 shown]
	v_fmac_f16_e32 v80, v47, v14
	v_fmac_f16_e32 v81, v29, v15
	;; [unrolled: 1-line block ×8, first 2 shown]
	v_fma_f16 v14, v46, v14, -v66
	v_fma_f16 v15, v36, v15, -v67
	;; [unrolled: 1-line block ×8, first 2 shown]
	v_add_f16_e32 v26, v74, v76
	v_add_f16_e32 v32, v50, v53
	v_sub_f16_e32 v29, v50, v53
	v_add_f16_e32 v31, v38, v50
	v_add_f16_e32 v37, v78, v79
	v_sub_f16_e32 v46, v12, v13
	v_add_f16_e32 v47, v39, v12
	v_add_f16_e32 v12, v12, v13
	;; [unrolled: 1-line block ×7, first 2 shown]
	v_sub_f16_e32 v52, v14, v15
	v_add_f16_e32 v54, v40, v14
	v_add_f16_e32 v14, v14, v15
	v_sub_f16_e32 v58, v16, v17
	v_add_f16_e32 v60, v42, v16
	v_add_f16_e32 v16, v16, v17
	;; [unrolled: 3-line block ×4, first 2 shown]
	v_sub_f16_e32 v33, v74, v76
	v_fmac_f16_e32 v34, -0.5, v26
	v_fmac_f16_e32 v38, -0.5, v32
	v_add_f16_e32 v36, v35, v78
	v_sub_f16_e32 v48, v78, v79
	v_add_f16_e32 v49, v41, v80
	v_add_f16_e32 v56, v43, v82
	;; [unrolled: 1-line block ×4, first 2 shown]
	v_fmac_f16_e32 v35, -0.5, v37
	v_fmac_f16_e32 v39, -0.5, v12
	;; [unrolled: 1-line block ×6, first 2 shown]
	v_sub_f16_e32 v55, v80, v81
	v_sub_f16_e32 v61, v82, v83
	;; [unrolled: 1-line block ×4, first 2 shown]
	v_add_f16_e32 v24, v24, v76
	v_add_f16_e32 v26, v31, v53
	v_fmac_f16_e32 v40, -0.5, v14
	v_fmac_f16_e32 v42, -0.5, v16
	;; [unrolled: 1-line block ×4, first 2 shown]
	v_fmamk_f16 v20, v29, 0xbaee, v34
	v_fmac_f16_e32 v34, 0x3aee, v29
	v_fmamk_f16 v29, v33, 0x3aee, v38
	v_fmac_f16_e32 v38, 0xbaee, v33
	v_add_f16_e32 v31, v36, v79
	v_add_f16_e32 v13, v47, v13
	;; [unrolled: 1-line block ×5, first 2 shown]
	v_fmamk_f16 v32, v46, 0xbaee, v35
	v_fmac_f16_e32 v35, 0x3aee, v46
	v_fmamk_f16 v33, v48, 0x3aee, v39
	v_fmac_f16_e32 v39, 0xbaee, v48
	;; [unrolled: 2-line block ×5, first 2 shown]
	v_fmamk_f16 v50, v69, 0xbaee, v59
	v_add_f16_e32 v15, v54, v15
	v_add_f16_e32 v17, v60, v17
	;; [unrolled: 1-line block ×5, first 2 shown]
	v_fmamk_f16 v37, v55, 0x3aee, v40
	v_fmac_f16_e32 v40, 0xbaee, v55
	v_fmamk_f16 v47, v61, 0x3aee, v42
	v_fmac_f16_e32 v42, 0xbaee, v61
	;; [unrolled: 2-line block ×3, first 2 shown]
	v_fmac_f16_e32 v59, 0x3aee, v69
	v_fmamk_f16 v52, v71, 0x3aee, v51
	v_fmac_f16_e32 v51, 0xbaee, v71
	ds_store_b16 v7, v24
	ds_store_b16 v7, v20 offset:198
	ds_store_b16 v7, v34 offset:396
	;; [unrolled: 1-line block ×17, first 2 shown]
	global_wb scope:SCOPE_SE
	s_wait_dscnt 0x0
	s_barrier_signal -1
	s_barrier_wait -1
	global_inv scope:SCOPE_SE
	ds_load_u16 v14, v7 offset:1386
	ds_load_u16 v18, v7 offset:2574
	;; [unrolled: 1-line block ×4, first 2 shown]
	ds_load_u16 v31, v7
	ds_load_u16 v32, v7 offset:198
	ds_load_u16 v34, v7 offset:396
	;; [unrolled: 1-line block ×13, first 2 shown]
	global_wb scope:SCOPE_SE
	s_wait_dscnt 0x0
	s_barrier_signal -1
	s_barrier_wait -1
	global_inv scope:SCOPE_SE
	ds_store_b16 v7, v26
	ds_store_b16 v7, v29 offset:198
	ds_store_b16 v7, v38 offset:396
	;; [unrolled: 1-line block ×17, first 2 shown]
	global_wb scope:SCOPE_SE
	s_wait_dscnt 0x0
	s_barrier_signal -1
	s_barrier_wait -1
	global_inv scope:SCOPE_SE
	s_clause 0x2
	global_load_b64 v[5:6], v[5:6], off offset:1144
	global_load_b64 v[12:13], v[22:23], off offset:1144
	;; [unrolled: 1-line block ×3, first 2 shown]
	v_add_nc_u32_e32 v16, 0, v3
	ds_load_u16 v3, v7 offset:1188
	ds_load_u16 v15, v7 offset:1386
	;; [unrolled: 1-line block ×6, first 2 shown]
	ds_load_u16 v27, v7
	ds_load_u16 v28, v7 offset:198
	ds_load_u16 v29, v7 offset:396
	;; [unrolled: 1-line block ×11, first 2 shown]
	global_wb scope:SCOPE_SE
	s_wait_loadcnt_dscnt 0x0
	s_barrier_signal -1
	s_barrier_wait -1
	global_inv scope:SCOPE_SE
	v_lshrrev_b32_e32 v42, 16, v5
	v_lshrrev_b32_e32 v47, 16, v12
	v_lshrrev_b32_e32 v49, 16, v13
	v_lshrrev_b32_e32 v44, 16, v6
	v_lshrrev_b32_e32 v51, 16, v10
	v_lshrrev_b32_e32 v52, 16, v11
	v_mul_f16_e32 v60, v15, v47
	v_mul_f16_e32 v62, v19, v49
	v_mul_f16_e32 v56, v3, v42
	v_mul_f16_e32 v58, v17, v44
	v_mul_f16_e32 v64, v23, v51
	v_mul_f16_e32 v66, v21, v52
	v_mul_f16_e32 v68, v25, v42
	v_mul_f16_e32 v69, v22, v44
	v_mul_f16_e32 v70, v26, v47
	v_mul_f16_e32 v71, v39, v49
	v_mul_f16_e32 v72, v38, v51
	v_mul_f16_e32 v73, v40, v52
	v_mul_f16_e32 v57, v46, v42
	v_mul_f16_e32 v59, v50, v44
	v_mul_f16_e32 v61, v14, v47
	v_mul_f16_e32 v63, v18, v49
	v_mul_f16_e32 v65, v41, v51
	v_mul_f16_e32 v47, v45, v47
	v_mul_f16_e32 v51, v53, v51
	v_fmac_f16_e32 v60, v14, v12
	v_fmac_f16_e32 v62, v18, v13
	v_mul_f16_e32 v67, v20, v52
	v_mul_f16_e32 v42, v43, v42
	;; [unrolled: 1-line block ×5, first 2 shown]
	v_fmac_f16_e32 v56, v46, v5
	v_fmac_f16_e32 v58, v50, v6
	;; [unrolled: 1-line block ×10, first 2 shown]
	v_fma_f16 v3, v3, v5, -v57
	v_fma_f16 v17, v17, v6, -v59
	;; [unrolled: 1-line block ×7, first 2 shown]
	v_add_f16_e32 v26, v60, v62
	v_fma_f16 v19, v21, v11, -v67
	v_fma_f16 v5, v25, v5, -v42
	;; [unrolled: 1-line block ×5, first 2 shown]
	v_add_f16_e32 v21, v56, v58
	v_add_f16_e32 v42, v64, v66
	;; [unrolled: 1-line block ×6, first 2 shown]
	v_sub_f16_e32 v22, v3, v17
	v_add_f16_e32 v23, v27, v3
	v_add_f16_e32 v3, v3, v17
	v_add_f16_e32 v25, v32, v60
	v_sub_f16_e32 v38, v14, v15
	v_add_f16_e32 v39, v28, v14
	v_add_f16_e32 v46, v35, v68
	;; [unrolled: 1-line block ×3, first 2 shown]
	v_fmac_f16_e32 v32, -0.5, v26
	v_add_f16_e32 v14, v14, v15
	v_sub_f16_e32 v40, v60, v62
	v_add_f16_e32 v41, v34, v64
	v_sub_f16_e32 v43, v18, v19
	v_add_f16_e32 v44, v29, v18
	v_add_f16_e32 v18, v18, v19
	v_sub_f16_e32 v49, v5, v6
	v_add_f16_e32 v50, v30, v5
	v_add_f16_e32 v5, v5, v6
	v_add_f16_e32 v52, v36, v70
	v_sub_f16_e32 v54, v12, v13
	v_add_f16_e32 v55, v33, v12
	;; [unrolled: 4-line block ×3, first 2 shown]
	v_fmac_f16_e32 v31, -0.5, v21
	v_fmac_f16_e32 v34, -0.5, v42
	;; [unrolled: 1-line block ×5, first 2 shown]
	v_sub_f16_e32 v24, v56, v58
	v_add_f16_e32 v20, v20, v58
	v_fmac_f16_e32 v27, -0.5, v3
	v_add_f16_e32 v3, v25, v62
	v_add_f16_e32 v39, v39, v15
	;; [unrolled: 1-line block ×4, first 2 shown]
	v_fmamk_f16 v11, v38, 0xbaee, v32
	v_fmac_f16_e32 v32, 0x3aee, v38
	v_add_f16_e32 v58, v23, v17
	v_fmac_f16_e32 v28, -0.5, v14
	v_add_f16_e32 v14, v41, v66
	v_add_f16_e32 v41, v44, v19
	v_fmac_f16_e32 v29, -0.5, v18
	v_add_f16_e32 v42, v50, v6
	v_fmac_f16_e32 v30, -0.5, v5
	v_add_f16_e32 v5, v52, v71
	v_add_f16_e32 v44, v55, v13
	v_fmac_f16_e32 v33, -0.5, v12
	v_add_f16_e32 v6, v57, v73
	v_fmac_f16_e32 v37, -0.5, v10
	v_fmamk_f16 v10, v22, 0xbaee, v31
	v_fmamk_f16 v12, v43, 0xbaee, v34
	;; [unrolled: 1-line block ×5, first 2 shown]
	v_fmac_f16_e32 v31, 0x3aee, v22
	v_fmamk_f16 v47, v24, 0x3aee, v27
	v_fmac_f16_e32 v27, 0xbaee, v24
	v_fmac_f16_e32 v34, 0x3aee, v43
	;; [unrolled: 1-line block ×5, first 2 shown]
	ds_store_b16 v7, v20
	ds_store_b16 v7, v3 offset:198
	ds_store_b16 v7, v11 offset:792
	ds_store_b16 v7, v32 offset:1386
	ds_store_b16 v7, v10 offset:594
	ds_store_b16 v7, v14 offset:396
	ds_store_b16 v7, v31 offset:1188
	ds_store_b16 v7, v12 offset:990
	ds_store_b16 v7, v34 offset:1584
	ds_store_b16 v7, v15 offset:1782
	ds_store_b16 v7, v5 offset:1980
	ds_store_b16 v7, v17 offset:2574
	ds_store_b16 v7, v13 offset:2376
	ds_store_b16 v7, v6 offset:2178
	ds_store_b16 v7, v35 offset:2970
	ds_store_b16 v7, v18 offset:2772
	ds_store_b16 v7, v36 offset:3168
	ds_store_b16 v7, v48 offset:3366
	global_wb scope:SCOPE_SE
	s_wait_dscnt 0x0
	s_barrier_signal -1
	s_barrier_wait -1
	global_inv scope:SCOPE_SE
	ds_load_u16 v5, v7
	ds_load_u16 v6, v7 offset:198
	ds_load_u16 v10, v7 offset:396
	ds_load_u16 v11, v7 offset:594
	ds_load_u16 v12, v7 offset:792
	ds_load_u16 v13, v7 offset:990
	ds_load_u16 v18, v7 offset:1782
	ds_load_u16 v14, v7 offset:1188
	ds_load_u16 v15, v16 offset:1386
	ds_load_u16 v17, v16 offset:1584
	ds_load_u16 v19, v7 offset:1980
	ds_load_u16 v20, v7 offset:2178
	ds_load_u16 v21, v7 offset:2376
	ds_load_u16 v22, v7 offset:2574
	ds_load_u16 v23, v7 offset:2772
	ds_load_u16 v24, v7 offset:2970
	ds_load_u16 v25, v7 offset:3168
	ds_load_u16 v26, v7 offset:3366
	v_sub_f16_e32 v45, v64, v66
	v_sub_f16_e32 v51, v68, v69
	;; [unrolled: 1-line block ×4, first 2 shown]
	v_fmamk_f16 v38, v40, 0x3aee, v28
	v_fmac_f16_e32 v28, 0xbaee, v40
	v_fmamk_f16 v40, v45, 0x3aee, v29
	v_fmac_f16_e32 v29, 0xbaee, v45
	;; [unrolled: 2-line block ×5, first 2 shown]
	global_wb scope:SCOPE_SE
	s_wait_dscnt 0x0
	s_barrier_signal -1
	s_barrier_wait -1
	global_inv scope:SCOPE_SE
	ds_store_b16 v7, v58
	ds_store_b16 v7, v39 offset:198
	ds_store_b16 v7, v38 offset:792
	;; [unrolled: 1-line block ×17, first 2 shown]
	global_wb scope:SCOPE_SE
	s_wait_dscnt 0x0
	s_barrier_signal -1
	s_barrier_wait -1
	global_inv scope:SCOPE_SE
	s_and_saveexec_b32 s0, vcc_lo
	s_cbranch_execz .LBB0_19
; %bb.18:
	v_mov_b32_e32 v3, v4
	v_mul_hi_u32 v8, 0x931b4b91, v8
	s_delay_alu instid0(VALU_DEP_2) | instskip(SKIP_1) | instid1(VALU_DEP_3)
	v_lshlrev_b64_e32 v[27:28], 2, v[2:3]
	v_mul_hi_u32 v3, 0x931b4b91, v9
	v_lshrrev_b32_e32 v8, 9, v8
	s_delay_alu instid0(VALU_DEP_3) | instskip(SKIP_1) | instid1(VALU_DEP_4)
	v_add_co_u32 v29, vcc_lo, s4, v27
	s_wait_alu 0xfffd
	v_add_co_ci_u32_e32 v30, vcc_lo, s5, v28, vcc_lo
	s_delay_alu instid0(VALU_DEP_4)
	v_lshrrev_b32_e32 v3, 9, v3
	s_clause 0x8
	global_load_b32 v31, v[29:30], off offset:6688
	global_load_b32 v32, v[29:30], off offset:6292
	;; [unrolled: 1-line block ×9, first 2 shown]
	v_add_nc_u32_e32 v29, 0x2b5, v2
	v_add_nc_u32_e32 v2, 0x318, v2
	ds_load_u16 v40, v16 offset:1584
	ds_load_u16 v16, v16 offset:1386
	;; [unrolled: 1-line block ×17, first 2 shown]
	ds_load_u16 v55, v7
	v_mul_hi_u32 v7, 0x931b4b91, v29
	v_mul_u32_u24_e32 v3, 0x37b, v3
	v_mul_hi_u32 v2, 0x931b4b91, v2
	v_add_co_u32 v29, vcc_lo, s8, v0
	s_wait_alu 0xfffd
	v_add_co_ci_u32_e32 v30, vcc_lo, s9, v1, vcc_lo
	v_lshlrev_b64_e32 v[0:1], 2, v[3:4]
	v_lshrrev_b32_e32 v56, 9, v7
	v_mul_u32_u24_e32 v3, 0x37b, v8
	v_add_co_u32 v7, vcc_lo, v29, v27
	s_wait_alu 0xfffd
	v_add_co_ci_u32_e32 v8, vcc_lo, v30, v28, vcc_lo
	v_lshrrev_b32_e32 v2, 9, v2
	v_lshlrev_b64_e32 v[27:28], 2, v[3:4]
	v_mul_u32_u24_e32 v3, 0x37b, v56
	v_add_co_u32 v0, vcc_lo, v7, v0
	s_wait_alu 0xfffd
	v_add_co_ci_u32_e32 v1, vcc_lo, v8, v1, vcc_lo
	s_delay_alu instid0(VALU_DEP_3) | instskip(SKIP_4) | instid1(VALU_DEP_3)
	v_lshlrev_b64_e32 v[29:30], 2, v[3:4]
	v_mul_u32_u24_e32 v3, 0x37b, v2
	v_add_co_u32 v27, vcc_lo, v7, v27
	s_wait_alu 0xfffd
	v_add_co_ci_u32_e32 v28, vcc_lo, v8, v28, vcc_lo
	v_lshlrev_b64_e32 v[2:3], 2, v[3:4]
	v_add_co_u32 v29, vcc_lo, v7, v29
	s_wait_alu 0xfffd
	v_add_co_ci_u32_e32 v30, vcc_lo, v8, v30, vcc_lo
	s_delay_alu instid0(VALU_DEP_3)
	v_add_co_u32 v2, vcc_lo, v7, v2
	s_wait_alu 0xfffd
	v_add_co_ci_u32_e32 v3, vcc_lo, v8, v3, vcc_lo
	s_wait_loadcnt 0x8
	v_lshrrev_b32_e32 v4, 16, v31
	s_wait_loadcnt 0x7
	v_lshrrev_b32_e32 v56, 16, v32
	;; [unrolled: 2-line block ×9, first 2 shown]
	s_wait_dscnt 0xb
	v_mul_f16_e32 v68, v59, v44
	v_mul_f16_e32 v59, v22, v59
	;; [unrolled: 1-line block ×6, first 2 shown]
	s_wait_dscnt 0x7
	v_mul_f16_e32 v72, v63, v48
	v_mul_f16_e32 v63, v18, v63
	;; [unrolled: 1-line block ×12, first 2 shown]
	v_fmac_f16_e32 v68, v22, v35
	v_fma_f16 v22, v35, v44, -v59
	v_fma_f16 v4, v31, v9, -v4
	v_fmac_f16_e32 v67, v23, v34
	v_fma_f16 v23, v34, v43, -v58
	v_fmac_f16_e32 v72, v18, v39
	v_fma_f16 v18, v39, v48, -v63
	v_fmac_f16_e32 v71, v19, v38
	v_fma_f16 v19, v38, v47, -v62
	v_fmac_f16_e32 v64, v26, v31
	v_fmac_f16_e32 v65, v25, v32
	v_fma_f16 v9, v32, v41, -v56
	v_fmac_f16_e32 v66, v24, v33
	v_fma_f16 v24, v33, v42, -v57
	;; [unrolled: 2-line block ×4, first 2 shown]
	v_sub_f16_e32 v33, v12, v68
	s_wait_dscnt 0x4
	v_sub_f16_e32 v22, v51, v22
	v_sub_f16_e32 v4, v40, v4
	;; [unrolled: 1-line block ×5, first 2 shown]
	s_wait_dscnt 0x0
	v_sub_f16_e32 v18, v55, v18
	v_sub_f16_e32 v36, v6, v71
	;; [unrolled: 1-line block ×12, first 2 shown]
	v_fma_f16 v12, v12, 2.0, -v33
	v_fma_f16 v41, v51, 2.0, -v22
	;; [unrolled: 1-line block ×18, first 2 shown]
	v_pack_b32_f16 v18, v37, v18
	v_pack_b32_f16 v12, v12, v41
	;; [unrolled: 1-line block ×15, first 2 shown]
	s_clause 0x4
	global_store_b32 v[7:8], v18, off offset:3564
	global_store_b32 v[7:8], v19, off offset:3960
	global_store_b32 v[7:8], v20, off offset:4356
	global_store_b32 v[7:8], v21, off offset:4752
	global_store_b32 v[0:1], v22, off offset:5148
	v_pack_b32_f16 v14, v14, v39
	v_pack_b32_f16 v15, v15, v16
	;; [unrolled: 1-line block ×3, first 2 shown]
	s_clause 0xc
	global_store_b32 v[0:1], v12, off offset:1584
	global_store_b32 v[27:28], v13, off offset:1980
	;; [unrolled: 1-line block ×3, first 2 shown]
	global_store_b32 v[7:8], v5, off
	global_store_b32 v[7:8], v6, off offset:396
	global_store_b32 v[7:8], v10, off offset:792
	;; [unrolled: 1-line block ×9, first 2 shown]
.LBB0_19:
	s_nop 0
	s_sendmsg sendmsg(MSG_DEALLOC_VGPRS)
	s_endpgm
	.section	.rodata,"a",@progbits
	.p2align	6, 0x0
	.amdhsa_kernel fft_rtc_back_len1782_factors_11_3_3_3_3_2_wgs_99_tpt_99_halfLds_half_ip_CI_unitstride_sbrr_dirReg
		.amdhsa_group_segment_fixed_size 0
		.amdhsa_private_segment_fixed_size 0
		.amdhsa_kernarg_size 88
		.amdhsa_user_sgpr_count 2
		.amdhsa_user_sgpr_dispatch_ptr 0
		.amdhsa_user_sgpr_queue_ptr 0
		.amdhsa_user_sgpr_kernarg_segment_ptr 1
		.amdhsa_user_sgpr_dispatch_id 0
		.amdhsa_user_sgpr_private_segment_size 0
		.amdhsa_wavefront_size32 1
		.amdhsa_uses_dynamic_stack 0
		.amdhsa_enable_private_segment 0
		.amdhsa_system_sgpr_workgroup_id_x 1
		.amdhsa_system_sgpr_workgroup_id_y 0
		.amdhsa_system_sgpr_workgroup_id_z 0
		.amdhsa_system_sgpr_workgroup_info 0
		.amdhsa_system_vgpr_workitem_id 0
		.amdhsa_next_free_vgpr 93
		.amdhsa_next_free_sgpr 32
		.amdhsa_reserve_vcc 1
		.amdhsa_float_round_mode_32 0
		.amdhsa_float_round_mode_16_64 0
		.amdhsa_float_denorm_mode_32 3
		.amdhsa_float_denorm_mode_16_64 3
		.amdhsa_fp16_overflow 0
		.amdhsa_workgroup_processor_mode 1
		.amdhsa_memory_ordered 1
		.amdhsa_forward_progress 0
		.amdhsa_round_robin_scheduling 0
		.amdhsa_exception_fp_ieee_invalid_op 0
		.amdhsa_exception_fp_denorm_src 0
		.amdhsa_exception_fp_ieee_div_zero 0
		.amdhsa_exception_fp_ieee_overflow 0
		.amdhsa_exception_fp_ieee_underflow 0
		.amdhsa_exception_fp_ieee_inexact 0
		.amdhsa_exception_int_div_zero 0
	.end_amdhsa_kernel
	.text
.Lfunc_end0:
	.size	fft_rtc_back_len1782_factors_11_3_3_3_3_2_wgs_99_tpt_99_halfLds_half_ip_CI_unitstride_sbrr_dirReg, .Lfunc_end0-fft_rtc_back_len1782_factors_11_3_3_3_3_2_wgs_99_tpt_99_halfLds_half_ip_CI_unitstride_sbrr_dirReg
                                        ; -- End function
	.section	.AMDGPU.csdata,"",@progbits
; Kernel info:
; codeLenInByte = 15140
; NumSgprs: 34
; NumVgprs: 93
; ScratchSize: 0
; MemoryBound: 0
; FloatMode: 240
; IeeeMode: 1
; LDSByteSize: 0 bytes/workgroup (compile time only)
; SGPRBlocks: 4
; VGPRBlocks: 11
; NumSGPRsForWavesPerEU: 34
; NumVGPRsForWavesPerEU: 93
; Occupancy: 16
; WaveLimiterHint : 1
; COMPUTE_PGM_RSRC2:SCRATCH_EN: 0
; COMPUTE_PGM_RSRC2:USER_SGPR: 2
; COMPUTE_PGM_RSRC2:TRAP_HANDLER: 0
; COMPUTE_PGM_RSRC2:TGID_X_EN: 1
; COMPUTE_PGM_RSRC2:TGID_Y_EN: 0
; COMPUTE_PGM_RSRC2:TGID_Z_EN: 0
; COMPUTE_PGM_RSRC2:TIDIG_COMP_CNT: 0
	.text
	.p2alignl 7, 3214868480
	.fill 96, 4, 3214868480
	.type	__hip_cuid_af0b9094cda46803,@object ; @__hip_cuid_af0b9094cda46803
	.section	.bss,"aw",@nobits
	.globl	__hip_cuid_af0b9094cda46803
__hip_cuid_af0b9094cda46803:
	.byte	0                               ; 0x0
	.size	__hip_cuid_af0b9094cda46803, 1

	.ident	"AMD clang version 19.0.0git (https://github.com/RadeonOpenCompute/llvm-project roc-6.4.0 25133 c7fe45cf4b819c5991fe208aaa96edf142730f1d)"
	.section	".note.GNU-stack","",@progbits
	.addrsig
	.addrsig_sym __hip_cuid_af0b9094cda46803
	.amdgpu_metadata
---
amdhsa.kernels:
  - .args:
      - .actual_access:  read_only
        .address_space:  global
        .offset:         0
        .size:           8
        .value_kind:     global_buffer
      - .offset:         8
        .size:           8
        .value_kind:     by_value
      - .actual_access:  read_only
        .address_space:  global
        .offset:         16
        .size:           8
        .value_kind:     global_buffer
      - .actual_access:  read_only
        .address_space:  global
        .offset:         24
        .size:           8
        .value_kind:     global_buffer
      - .offset:         32
        .size:           8
        .value_kind:     by_value
      - .actual_access:  read_only
        .address_space:  global
        .offset:         40
        .size:           8
        .value_kind:     global_buffer
      - .actual_access:  read_only
        .address_space:  global
        .offset:         48
        .size:           8
        .value_kind:     global_buffer
      - .offset:         56
        .size:           4
        .value_kind:     by_value
      - .actual_access:  read_only
        .address_space:  global
        .offset:         64
        .size:           8
        .value_kind:     global_buffer
      - .actual_access:  read_only
        .address_space:  global
        .offset:         72
        .size:           8
        .value_kind:     global_buffer
      - .address_space:  global
        .offset:         80
        .size:           8
        .value_kind:     global_buffer
    .group_segment_fixed_size: 0
    .kernarg_segment_align: 8
    .kernarg_segment_size: 88
    .language:       OpenCL C
    .language_version:
      - 2
      - 0
    .max_flat_workgroup_size: 99
    .name:           fft_rtc_back_len1782_factors_11_3_3_3_3_2_wgs_99_tpt_99_halfLds_half_ip_CI_unitstride_sbrr_dirReg
    .private_segment_fixed_size: 0
    .sgpr_count:     34
    .sgpr_spill_count: 0
    .symbol:         fft_rtc_back_len1782_factors_11_3_3_3_3_2_wgs_99_tpt_99_halfLds_half_ip_CI_unitstride_sbrr_dirReg.kd
    .uniform_work_group_size: 1
    .uses_dynamic_stack: false
    .vgpr_count:     93
    .vgpr_spill_count: 0
    .wavefront_size: 32
    .workgroup_processor_mode: 1
amdhsa.target:   amdgcn-amd-amdhsa--gfx1201
amdhsa.version:
  - 1
  - 2
...

	.end_amdgpu_metadata
